;; amdgpu-corpus repo=ggml-org/llama.cpp kind=compiled arch=gfx906 opt=O3
	.amdgcn_target "amdgcn-amd-amdhsa--gfx906"
	.amdhsa_code_object_version 6
	.section	.text._ZL11upscale_f32PKfPfiiiiiiiiffff,"axG",@progbits,_ZL11upscale_f32PKfPfiiiiiiiiffff,comdat
	.globl	_ZL11upscale_f32PKfPfiiiiiiiiffff ; -- Begin function _ZL11upscale_f32PKfPfiiiiiiiiffff
	.p2align	8
	.type	_ZL11upscale_f32PKfPfiiiiiiiiffff,@function
_ZL11upscale_f32PKfPfiiiiiiiiffff:      ; @_ZL11upscale_f32PKfPfiiiiiiiiffff
; %bb.0:
	s_load_dword s0, s[4:5], 0x4c
	s_load_dwordx8 s[8:15], s[4:5], 0x10
	s_waitcnt lgkmcnt(0)
	s_and_b32 s0, s0, 0xffff
	s_mul_i32 s1, s13, s12
	s_mul_i32 s6, s6, s0
	;; [unrolled: 1-line block ×3, first 2 shown]
	v_add_u32_e32 v0, s6, v0
	s_mul_i32 s2, s0, s15
	v_cmp_gt_i32_e32 vcc, s2, v0
	s_and_saveexec_b64 s[2:3], vcc
	s_cbranch_execz .LBB0_2
; %bb.1:
	s_abs_i32 s2, s12
	v_cvt_f32_u32_e32 v1, s2
	s_sub_i32 s7, 0, s2
	s_abs_i32 s6, s13
	v_cvt_f32_u32_e32 v5, s6
	v_rcp_iflag_f32_e32 v2, v1
	v_ashrrev_i32_e32 v1, 31, v0
	s_ashr_i32 s3, s12, 31
	v_rcp_iflag_f32_e32 v5, v5
	v_mul_f32_e32 v2, 0x4f7ffffe, v2
	v_cvt_u32_f32_e32 v3, v2
	v_sub_u32_e32 v2, 0, v0
	v_max_i32_e32 v2, v0, v2
	v_xor_b32_e32 v6, s3, v1
	v_mul_lo_u32 v4, s7, v3
	s_abs_i32 s7, s1
	v_cvt_f32_u32_e32 v7, s7
	s_sub_i32 s3, 0, s6
	v_mul_hi_u32 v4, v3, v4
	s_ashr_i32 s1, s1, 31
	v_rcp_iflag_f32_e32 v7, v7
	s_load_dwordx4 s[20:23], s[4:5], 0x30
	s_load_dwordx4 s[16:19], s[4:5], 0x0
	v_add_u32_e32 v3, v3, v4
	v_mul_hi_u32 v3, v2, v3
	v_mul_f32_e32 v4, 0x4f7ffffe, v5
	v_cvt_u32_f32_e32 v4, v4
	v_mul_f32_e32 v7, 0x4f7ffffe, v7
	v_mul_lo_u32 v5, v3, s2
	v_add_u32_e32 v9, 1, v3
	v_mul_lo_u32 v8, s3, v4
	v_cvt_u32_f32_e32 v7, v7
	v_sub_u32_e32 v5, v2, v5
	v_cmp_le_u32_e32 vcc, s2, v5
	v_mul_hi_u32 v8, v4, v8
	v_cndmask_b32_e32 v3, v3, v9, vcc
	v_subrev_u32_e32 v9, s2, v5
	v_cndmask_b32_e32 v5, v5, v9, vcc
	v_cmp_le_u32_e32 vcc, s2, v5
	s_sub_i32 s2, 0, s7
	v_add_u32_e32 v9, 1, v3
	v_add_u32_e32 v4, v4, v8
	v_mul_lo_u32 v8, s2, v7
	v_cndmask_b32_e32 v3, v3, v9, vcc
	v_xor_b32_e32 v3, v3, v6
	v_sub_u32_e32 v5, v3, v6
	v_sub_u32_e32 v6, 0, v5
	v_mul_hi_u32 v8, v7, v8
	v_max_i32_e32 v6, v5, v6
	v_mul_hi_u32 v4, v6, v4
	s_abs_i32 s2, s14
	v_add_u32_e32 v7, v7, v8
	v_mul_hi_u32 v7, v2, v7
	v_mul_lo_u32 v4, v4, s6
	s_sub_i32 s3, 0, s2
	v_mul_lo_u32 v3, v5, s12
	v_mul_lo_u32 v8, v7, s7
	v_sub_u32_e32 v4, v6, v4
	v_subrev_u32_e32 v6, s6, v4
	v_cmp_le_u32_e32 vcc, s6, v4
	v_cndmask_b32_e32 v4, v4, v6, vcc
	v_subrev_u32_e32 v6, s6, v4
	v_cmp_le_u32_e32 vcc, s6, v4
	v_sub_u32_e32 v8, v2, v8
	v_cndmask_b32_e32 v4, v4, v6, vcc
	v_add_u32_e32 v9, 1, v7
	v_cmp_le_u32_e32 vcc, s7, v8
	v_cndmask_b32_e32 v7, v7, v9, vcc
	v_cvt_f32_u32_e32 v9, s2
	v_subrev_u32_e32 v10, s7, v8
	v_xor_b32_e32 v6, s1, v1
	v_cndmask_b32_e32 v8, v8, v10, vcc
	v_rcp_iflag_f32_e32 v9, v9
	s_abs_i32 s1, s0
	v_cmp_le_u32_e32 vcc, s7, v8
	v_add_u32_e32 v10, 1, v7
	v_mul_f32_e32 v8, 0x4f7ffffe, v9
	v_cvt_f32_u32_e32 v9, s1
	v_cvt_u32_f32_e32 v8, v8
	v_cndmask_b32_e32 v7, v7, v10, vcc
	v_xor_b32_e32 v7, v7, v6
	v_sub_u32_e32 v6, v7, v6
	v_rcp_iflag_f32_e32 v7, v9
	v_mul_lo_u32 v10, s3, v8
	s_sub_i32 s3, 0, s1
	v_sub_u32_e32 v9, 0, v6
	v_mul_f32_e32 v7, 0x4f7ffffe, v7
	v_mul_hi_u32 v10, v8, v10
	v_cvt_u32_f32_e32 v7, v7
	v_ashrrev_i32_e32 v5, 31, v5
	v_max_i32_e32 v9, v6, v9
	v_add_u32_e32 v8, v8, v10
	v_mul_lo_u32 v10, s3, v7
	v_mul_hi_u32 v8, v9, v8
	v_xor_b32_e32 v4, v4, v5
	v_sub_u32_e32 v4, v4, v5
	v_mul_hi_u32 v5, v7, v10
	s_abs_i32 s3, s15
	v_cvt_f32_u32_e32 v10, s3
	v_mul_lo_u32 v8, v8, s2
	v_add_u32_e32 v5, v7, v5
	v_mul_hi_u32 v5, v2, v5
	v_rcp_iflag_f32_e32 v10, v10
	v_sub_u32_e32 v8, v9, v8
	v_subrev_u32_e32 v9, s2, v8
	v_cmp_le_u32_e32 vcc, s2, v8
	v_cndmask_b32_e32 v7, v8, v9, vcc
	v_mul_lo_u32 v9, v5, s1
	v_mul_f32_e32 v10, 0x4f7ffffe, v10
	v_cvt_u32_f32_e32 v10, v10
	s_ashr_i32 s0, s0, 31
	v_xor_b32_e32 v11, s0, v1
	v_sub_u32_e32 v2, v2, v9
	s_sub_i32 s0, 0, s3
	v_add_u32_e32 v9, 1, v5
	v_cmp_le_u32_e32 vcc, s1, v2
	v_mul_lo_u32 v12, s0, v10
	v_cndmask_b32_e32 v5, v5, v9, vcc
	v_subrev_u32_e32 v9, s1, v2
	v_cndmask_b32_e32 v2, v2, v9, vcc
	v_sub_u32_e32 v3, v0, v3
	v_add_u32_e32 v9, 1, v5
	v_cmp_le_u32_e32 vcc, s1, v2
	v_cndmask_b32_e32 v2, v5, v9, vcc
	v_mul_hi_u32 v5, v10, v12
	v_cvt_f32_i32_e32 v3, v3
	v_xor_b32_e32 v2, v2, v11
	v_sub_u32_e32 v2, v2, v11
	v_add_u32_e32 v5, v10, v5
	s_waitcnt lgkmcnt(0)
	v_div_scale_f32 v10, s[0:1], s20, s20, v3
	v_sub_u32_e32 v9, 0, v2
	v_max_i32_e32 v9, v2, v9
	v_subrev_u32_e32 v8, s2, v7
	v_mul_hi_u32 v5, v9, v5
	v_cmp_le_u32_e32 vcc, s2, v7
	v_ashrrev_i32_e32 v6, 31, v6
	v_cndmask_b32_e32 v7, v7, v8, vcc
	v_xor_b32_e32 v7, v7, v6
	v_sub_u32_e32 v6, v7, v6
	v_div_scale_f32 v7, vcc, v3, s20, v3
	v_mul_lo_u32 v5, v5, s3
	v_cvt_f32_i32_e32 v4, v4
	v_ashrrev_i32_e32 v2, 31, v2
	v_cvt_f32_i32_e32 v6, v6
	v_sub_u32_e32 v5, v9, v5
	v_subrev_u32_e32 v8, s3, v5
	v_cmp_le_u32_e64 s[0:1], s3, v5
	v_cndmask_b32_e64 v5, v5, v8, s[0:1]
	v_subrev_u32_e32 v8, s3, v5
	v_cmp_le_u32_e64 s[0:1], s3, v5
	v_cndmask_b32_e64 v5, v5, v8, s[0:1]
	v_div_scale_f32 v9, s[0:1], s21, s21, v4
	v_rcp_f32_e32 v8, v10
	v_xor_b32_e32 v5, v5, v2
	v_sub_u32_e32 v2, v5, v2
	v_div_scale_f32 v12, s[0:1], v4, s21, v4
	v_fma_f32 v5, -v10, v8, 1.0
	v_fmac_f32_e32 v8, v5, v8
	v_mul_f32_e32 v5, v7, v8
	v_fma_f32 v11, -v10, v5, v7
	v_fmac_f32_e32 v5, v11, v8
	v_fma_f32 v7, -v10, v5, v7
	v_div_scale_f32 v10, s[2:3], s22, s22, v6
	v_cvt_f32_i32_e32 v2, v2
	v_div_fmas_f32 v5, v7, v8, v5
	v_rcp_f32_e32 v7, v9
	v_div_scale_f32 v8, s[2:3], v6, s22, v6
	v_div_scale_f32 v13, s[4:5], s23, s23, v2
	v_fma_f32 v11, -v9, v7, 1.0
	v_fmac_f32_e32 v7, v11, v7
	v_mul_f32_e32 v11, v12, v7
	v_fma_f32 v14, -v9, v11, v12
	v_fmac_f32_e32 v11, v14, v7
	v_div_scale_f32 v14, s[4:5], v2, s23, v2
	v_rcp_f32_e32 v15, v10
	v_fma_f32 v9, -v9, v11, v12
	s_mov_b64 vcc, s[0:1]
	v_div_fmas_f32 v7, v9, v7, v11
	v_fma_f32 v9, -v10, v15, 1.0
	v_fmac_f32_e32 v15, v9, v15
	v_mul_f32_e32 v9, v8, v15
	v_fma_f32 v11, -v10, v9, v8
	v_fmac_f32_e32 v9, v11, v15
	v_rcp_f32_e32 v11, v13
	v_fma_f32 v8, -v10, v9, v8
	s_mov_b64 vcc, s[2:3]
	v_div_fmas_f32 v8, v8, v15, v9
	v_fma_f32 v9, -v13, v11, 1.0
	v_fmac_f32_e32 v11, v9, v11
	v_mul_f32_e32 v9, v14, v11
	v_fma_f32 v10, -v13, v9, v14
	v_fmac_f32_e32 v9, v10, v11
	v_fma_f32 v10, -v13, v9, v14
	s_mov_b64 vcc, s[4:5]
	v_div_fmas_f32 v9, v10, v11, v9
	v_div_fixup_f32 v3, v5, s20, v3
	v_div_fixup_f32 v4, v7, s21, v4
	v_cvt_i32_f32_e32 v4, v4
	v_cvt_i32_f32_e32 v3, v3
	v_mov_b32_e32 v7, s17
	v_lshlrev_b64 v[0:1], 2, v[0:1]
	v_mul_lo_u32 v4, s9, v4
	v_div_fixup_f32 v5, v8, s22, v6
	v_cvt_i32_f32_e32 v5, v5
	v_mul_lo_u32 v3, s8, v3
	v_mul_lo_u32 v5, s10, v5
	v_div_fixup_f32 v2, v9, s23, v2
	v_cvt_i32_f32_e32 v2, v2
	v_mul_lo_u32 v2, s11, v2
	v_ashrrev_i32_e32 v6, 31, v2
	v_add_co_u32_e32 v2, vcc, s16, v2
	v_addc_co_u32_e32 v6, vcc, v7, v6, vcc
	v_ashrrev_i32_e32 v7, 31, v5
	v_add_co_u32_e32 v2, vcc, v2, v5
	v_addc_co_u32_e32 v5, vcc, v6, v7, vcc
	;; [unrolled: 3-line block ×4, first 2 shown]
	global_load_dword v2, v[2:3], off
	v_mov_b32_e32 v3, s19
	v_add_co_u32_e32 v0, vcc, s18, v0
	v_addc_co_u32_e32 v1, vcc, v3, v1, vcc
	s_waitcnt vmcnt(0)
	global_store_dword v[0:1], v2, off
.LBB0_2:
	s_endpgm
	.section	.rodata,"a",@progbits
	.p2align	6, 0x0
	.amdhsa_kernel _ZL11upscale_f32PKfPfiiiiiiiiffff
		.amdhsa_group_segment_fixed_size 0
		.amdhsa_private_segment_fixed_size 0
		.amdhsa_kernarg_size 320
		.amdhsa_user_sgpr_count 6
		.amdhsa_user_sgpr_private_segment_buffer 1
		.amdhsa_user_sgpr_dispatch_ptr 0
		.amdhsa_user_sgpr_queue_ptr 0
		.amdhsa_user_sgpr_kernarg_segment_ptr 1
		.amdhsa_user_sgpr_dispatch_id 0
		.amdhsa_user_sgpr_flat_scratch_init 0
		.amdhsa_user_sgpr_private_segment_size 0
		.amdhsa_uses_dynamic_stack 0
		.amdhsa_system_sgpr_private_segment_wavefront_offset 0
		.amdhsa_system_sgpr_workgroup_id_x 1
		.amdhsa_system_sgpr_workgroup_id_y 0
		.amdhsa_system_sgpr_workgroup_id_z 0
		.amdhsa_system_sgpr_workgroup_info 0
		.amdhsa_system_vgpr_workitem_id 0
		.amdhsa_next_free_vgpr 16
		.amdhsa_next_free_sgpr 24
		.amdhsa_reserve_vcc 1
		.amdhsa_reserve_flat_scratch 0
		.amdhsa_float_round_mode_32 0
		.amdhsa_float_round_mode_16_64 0
		.amdhsa_float_denorm_mode_32 3
		.amdhsa_float_denorm_mode_16_64 3
		.amdhsa_dx10_clamp 1
		.amdhsa_ieee_mode 1
		.amdhsa_fp16_overflow 0
		.amdhsa_exception_fp_ieee_invalid_op 0
		.amdhsa_exception_fp_denorm_src 0
		.amdhsa_exception_fp_ieee_div_zero 0
		.amdhsa_exception_fp_ieee_overflow 0
		.amdhsa_exception_fp_ieee_underflow 0
		.amdhsa_exception_fp_ieee_inexact 0
		.amdhsa_exception_int_div_zero 0
	.end_amdhsa_kernel
	.section	.text._ZL11upscale_f32PKfPfiiiiiiiiffff,"axG",@progbits,_ZL11upscale_f32PKfPfiiiiiiiiffff,comdat
.Lfunc_end0:
	.size	_ZL11upscale_f32PKfPfiiiiiiiiffff, .Lfunc_end0-_ZL11upscale_f32PKfPfiiiiiiiiffff
                                        ; -- End function
	.set _ZL11upscale_f32PKfPfiiiiiiiiffff.num_vgpr, 16
	.set _ZL11upscale_f32PKfPfiiiiiiiiffff.num_agpr, 0
	.set _ZL11upscale_f32PKfPfiiiiiiiiffff.numbered_sgpr, 24
	.set _ZL11upscale_f32PKfPfiiiiiiiiffff.num_named_barrier, 0
	.set _ZL11upscale_f32PKfPfiiiiiiiiffff.private_seg_size, 0
	.set _ZL11upscale_f32PKfPfiiiiiiiiffff.uses_vcc, 1
	.set _ZL11upscale_f32PKfPfiiiiiiiiffff.uses_flat_scratch, 0
	.set _ZL11upscale_f32PKfPfiiiiiiiiffff.has_dyn_sized_stack, 0
	.set _ZL11upscale_f32PKfPfiiiiiiiiffff.has_recursion, 0
	.set _ZL11upscale_f32PKfPfiiiiiiiiffff.has_indirect_call, 0
	.section	.AMDGPU.csdata,"",@progbits
; Kernel info:
; codeLenInByte = 1264
; TotalNumSgprs: 28
; NumVgprs: 16
; ScratchSize: 0
; MemoryBound: 0
; FloatMode: 240
; IeeeMode: 1
; LDSByteSize: 0 bytes/workgroup (compile time only)
; SGPRBlocks: 3
; VGPRBlocks: 3
; NumSGPRsForWavesPerEU: 28
; NumVGPRsForWavesPerEU: 16
; Occupancy: 10
; WaveLimiterHint : 0
; COMPUTE_PGM_RSRC2:SCRATCH_EN: 0
; COMPUTE_PGM_RSRC2:USER_SGPR: 6
; COMPUTE_PGM_RSRC2:TRAP_HANDLER: 0
; COMPUTE_PGM_RSRC2:TGID_X_EN: 1
; COMPUTE_PGM_RSRC2:TGID_Y_EN: 0
; COMPUTE_PGM_RSRC2:TGID_Z_EN: 0
; COMPUTE_PGM_RSRC2:TIDIG_COMP_CNT: 0
	.section	.text._ZL20upscale_f32_bilinearPKfPfiiiiiiiiiifffff,"axG",@progbits,_ZL20upscale_f32_bilinearPKfPfiiiiiiiiiifffff,comdat
	.globl	_ZL20upscale_f32_bilinearPKfPfiiiiiiiiiifffff ; -- Begin function _ZL20upscale_f32_bilinearPKfPfiiiiiiiiiifffff
	.p2align	8
	.type	_ZL20upscale_f32_bilinearPKfPfiiiiiiiiiifffff,@function
_ZL20upscale_f32_bilinearPKfPfiiiiiiiiiifffff: ; @_ZL20upscale_f32_bilinearPKfPfiiiiiiiiiifffff
; %bb.0:
	s_load_dword s0, s[4:5], 0x5c
	s_load_dwordx4 s[20:23], s[4:5], 0x30
	s_load_dwordx8 s[8:15], s[4:5], 0x10
	v_mov_b32_e32 v1, 0
	s_waitcnt lgkmcnt(0)
	s_and_b32 s0, s0, 0xffff
	s_mul_i32 s6, s6, s0
	s_mul_i32 s1, s15, s14
	;; [unrolled: 1-line block ×4, first 2 shown]
	v_add_u32_e32 v0, s6, v0
	s_ashr_i32 s3, s2, 31
	v_cmp_gt_i64_e32 vcc, s[2:3], v[0:1]
	s_and_saveexec_b64 s[2:3], vcc
	s_cbranch_execz .LBB1_2
; %bb.1:
	s_abs_i32 s2, s14
	v_cvt_f32_u32_e32 v2, s2
	s_sub_i32 s3, 0, s2
	v_sub_u32_e32 v4, 0, v0
	s_load_dwordx4 s[24:27], s[4:5], 0x40
	s_load_dwordx4 s[16:19], s[4:5], 0x0
	v_rcp_iflag_f32_e32 v2, v2
	s_abs_i32 s4, s1
	v_max_i32_e32 v4, v0, v4
	v_cvt_f32_u32_e32 v6, s4
	v_mul_f32_e32 v2, 0x4f7ffffe, v2
	v_cvt_u32_f32_e32 v2, v2
	v_xor_b32_e32 v3, s14, v0
	v_ashrrev_i32_e32 v3, 31, v3
	s_sub_i32 s5, 0, s4
	v_mul_lo_u32 v5, s3, v2
	s_abs_i32 s3, s15
	v_cvt_f32_u32_e32 v7, s3
	s_ashr_i32 s1, s1, 31
	v_mul_hi_u32 v5, v2, v5
	v_add_u32_e32 v2, v2, v5
	v_mul_hi_u32 v2, v4, v2
	v_rcp_iflag_f32_e32 v5, v6
	v_rcp_iflag_f32_e32 v6, v7
	v_mul_lo_u32 v7, v2, s2
	v_add_u32_e32 v8, 1, v2
	v_mul_f32_e32 v5, 0x4f7ffffe, v5
	v_cvt_u32_f32_e32 v5, v5
	v_sub_u32_e32 v7, v4, v7
	v_cmp_le_u32_e32 vcc, s2, v7
	v_cndmask_b32_e32 v2, v2, v8, vcc
	v_subrev_u32_e32 v8, s2, v7
	v_cndmask_b32_e32 v7, v7, v8, vcc
	v_add_u32_e32 v8, 1, v2
	v_cmp_le_u32_e32 vcc, s2, v7
	v_cndmask_b32_e32 v2, v2, v8, vcc
	v_xor_b32_e32 v2, v2, v3
	v_sub_u32_e32 v7, v2, v3
	v_mul_f32_e32 v3, 0x4f7ffffe, v6
	v_cvt_u32_f32_e32 v6, v3
	v_mul_lo_u32 v3, s5, v5
	s_sub_i32 s2, 0, s3
	v_sub_u32_e32 v10, 0, v7
	v_mul_lo_u32 v8, s2, v6
	v_mul_hi_u32 v9, v5, v3
	v_mul_lo_u32 v2, v7, s14
	v_ashrrev_i32_e32 v3, 31, v7
	v_max_i32_e32 v7, v7, v10
	v_add_u32_e32 v5, v5, v9
	v_ashrrev_i32_e32 v9, 31, v0
	v_xor_b32_e32 v10, s1, v9
	s_abs_i32 s1, s20
	v_cvt_f32_u32_e32 v11, s1
	v_mul_hi_u32 v8, v6, v8
	v_mul_hi_u32 v5, v4, v5
	s_sub_i32 s2, 0, s1
	v_rcp_iflag_f32_e32 v11, v11
	v_add_u32_e32 v6, v6, v8
	v_mul_lo_u32 v8, v5, s4
	v_add_u32_e32 v12, 1, v5
	v_mul_f32_e32 v11, 0x4f7ffffe, v11
	v_cvt_u32_f32_e32 v11, v11
	v_sub_u32_e32 v8, v4, v8
	v_cmp_le_u32_e32 vcc, s4, v8
	v_cndmask_b32_e32 v5, v5, v12, vcc
	v_subrev_u32_e32 v12, s4, v8
	v_cndmask_b32_e32 v8, v8, v12, vcc
	v_add_u32_e32 v12, 1, v5
	v_cmp_le_u32_e32 vcc, s4, v8
	v_mul_lo_u32 v8, s2, v11
	s_abs_i32 s2, s0
	v_cndmask_b32_e32 v5, v5, v12, vcc
	v_cvt_f32_u32_e32 v12, s2
	v_mul_hi_u32 v8, v11, v8
	v_xor_b32_e32 v5, v5, v10
	v_sub_u32_e32 v5, v5, v10
	v_rcp_iflag_f32_e32 v12, v12
	v_add_u32_e32 v8, v11, v8
	v_sub_u32_e32 v10, 0, v5
	v_max_i32_e32 v10, v5, v10
	v_mul_f32_e32 v11, 0x4f7ffffe, v12
	v_cvt_u32_f32_e32 v11, v11
	s_sub_i32 s4, 0, s2
	v_mul_hi_u32 v8, v10, v8
	v_ashrrev_i32_e32 v5, 31, v5
	v_mul_lo_u32 v12, s4, v11
	s_ashr_i32 s0, s0, 31
	v_mul_lo_u32 v8, v8, s1
	v_mul_hi_u32 v6, v7, v6
	v_mul_hi_u32 v12, v11, v12
	v_sub_u32_e32 v2, v0, v2
	v_sub_u32_e32 v8, v10, v8
	v_subrev_u32_e32 v10, s1, v8
	v_add_u32_e32 v11, v11, v12
	v_cmp_le_u32_e32 vcc, s1, v8
	v_mul_hi_u32 v11, v4, v11
	v_cndmask_b32_e32 v8, v8, v10, vcc
	v_subrev_u32_e32 v10, s1, v8
	v_cmp_le_u32_e32 vcc, s1, v8
	v_cndmask_b32_e32 v8, v8, v10, vcc
	v_xor_b32_e32 v8, v8, v5
	v_mul_lo_u32 v10, v11, s2
	v_sub_u32_e32 v5, v8, v5
	v_cvt_f32_i32_e32 v5, v5
	v_xor_b32_e32 v8, s0, v9
	v_sub_u32_e32 v4, v4, v10
	v_cmp_le_u32_e32 vcc, s2, v4
	v_subrev_u32_e32 v10, s2, v4
	v_cndmask_b32_e32 v4, v4, v10, vcc
	s_waitcnt lgkmcnt(0)
	v_div_scale_f32 v10, s[0:1], s24, s24, v5
	v_add_u32_e32 v9, 1, v11
	v_cndmask_b32_e32 v9, v11, v9, vcc
	v_add_u32_e32 v11, 1, v9
	v_cmp_le_u32_e32 vcc, s2, v4
	v_cndmask_b32_e32 v4, v9, v11, vcc
	v_xor_b32_e32 v4, v4, v8
	v_sub_u32_e32 v4, v4, v8
	v_div_scale_f32 v8, vcc, v5, s24, v5
	v_mul_lo_u32 v6, v6, s3
	v_cvt_f32_i32_e32 v4, v4
	v_cvt_f32_u32_e32 v2, v2
	v_lshlrev_b64 v[0:1], 2, v[0:1]
	v_sub_u32_e32 v6, v7, v6
	v_div_scale_f32 v9, s[0:1], s25, s25, v4
	v_subrev_u32_e32 v7, s3, v6
	v_cmp_le_u32_e64 s[0:1], s3, v6
	v_cndmask_b32_e64 v6, v6, v7, s[0:1]
	v_rcp_f32_e32 v11, v10
	v_subrev_u32_e32 v7, s3, v6
	v_cmp_le_u32_e64 s[0:1], s3, v6
	v_cndmask_b32_e64 v6, v6, v7, s[0:1]
	v_xor_b32_e32 v6, v6, v3
	v_sub_u32_e32 v3, v6, v3
	v_fma_f32 v6, -v10, v11, 1.0
	v_fmac_f32_e32 v11, v6, v11
	v_mul_f32_e32 v6, v8, v11
	v_fma_f32 v7, -v10, v6, v8
	v_cvt_f32_i32_e32 v3, v3
	v_fmac_f32_e32 v6, v7, v11
	v_div_scale_f32 v7, s[0:1], v4, s25, v4
	v_add_f32_e32 v3, s26, v3
	v_div_scale_f32 v13, s[2:3], s23, s23, v3
	v_rcp_f32_e32 v12, v9
	v_fma_f32 v8, -v10, v6, v8
	v_div_scale_f32 v10, s[2:3], v3, s23, v3
	v_div_fmas_f32 v6, v8, v11, v6
	v_fma_f32 v8, -v9, v12, 1.0
	v_add_f32_e32 v2, s26, v2
	v_fmac_f32_e32 v12, v8, v12
	v_div_scale_f32 v8, s[4:5], s22, s22, v2
	s_mov_b64 vcc, s[0:1]
	v_mul_f32_e32 v11, v7, v12
	v_fma_f32 v14, -v9, v11, v7
	v_fmac_f32_e32 v11, v14, v12
	v_div_scale_f32 v14, s[4:5], v2, s22, v2
	v_fma_f32 v7, -v9, v11, v7
	v_rcp_f32_e32 v9, v13
	v_div_fmas_f32 v7, v7, v12, v11
	s_mov_b64 vcc, s[2:3]
	v_div_fixup_f32 v5, v6, s24, v5
	v_fma_f32 v11, -v13, v9, 1.0
	v_fmac_f32_e32 v9, v11, v9
	v_mul_f32_e32 v11, v10, v9
	v_fma_f32 v12, -v13, v11, v10
	v_fmac_f32_e32 v11, v12, v9
	v_rcp_f32_e32 v12, v8
	v_fma_f32 v10, -v13, v11, v10
	v_div_fmas_f32 v9, v10, v9, v11
	s_mov_b64 vcc, s[4:5]
	v_fma_f32 v10, -v8, v12, 1.0
	v_fmac_f32_e32 v12, v10, v12
	v_mul_f32_e32 v10, v14, v12
	v_fma_f32 v11, -v8, v10, v14
	v_fmac_f32_e32 v10, v11, v12
	v_fma_f32 v8, -v8, v10, v14
	v_div_fmas_f32 v8, v8, v12, v10
	v_div_fixup_f32 v4, v7, s25, v4
	s_add_i32 s0, s13, -1
	s_add_i32 s2, s12, -1
	v_cvt_i32_f32_e32 v10, v4
	v_div_fixup_f32 v3, v9, s23, v3
	v_subrev_f32_e32 v14, s26, v3
	v_floor_f32_e32 v3, v14
	v_cvt_i32_f32_e32 v3, v3
	v_cvt_i32_f32_e32 v9, v5
	v_add_u32_e32 v4, 1, v3
	v_div_fixup_f32 v2, v8, s22, v2
	v_subrev_f32_e32 v15, s26, v2
	v_floor_f32_e32 v2, v15
	v_cvt_i32_f32_e32 v6, v2
	v_min_i32_e32 v3, s0, v3
	v_max_i32_e32 v16, 0, v3
	v_min_i32_e32 v7, s0, v4
	v_min_i32_e32 v2, s2, v6
	v_max_i32_e32 v17, 0, v2
	v_mov_b32_e32 v2, s16
	v_mov_b32_e32 v3, s17
	v_mad_i64_i32 v[4:5], s[0:1], v17, s8, v[2:3]
	v_max_i32_e32 v18, 0, v7
	v_add_u32_e32 v11, 1, v6
	v_mad_i64_i32 v[6:7], s[0:1], v16, s9, v[4:5]
	v_mad_i64_i32 v[8:9], s[0:1], v9, s10, 0
	v_min_i32_e32 v11, s2, v11
	v_max_i32_e32 v11, 0, v11
	v_mad_i64_i32 v[2:3], s[0:1], v11, s8, v[2:3]
	v_add_co_u32_e32 v12, vcc, v6, v8
	v_addc_co_u32_e32 v13, vcc, v7, v9, vcc
	v_mad_i64_i32 v[6:7], s[0:1], v10, s11, 0
	v_mad_i64_i32 v[10:11], s[0:1], v16, s9, v[2:3]
	v_add_co_u32_e32 v12, vcc, v12, v6
	v_addc_co_u32_e32 v13, vcc, v13, v7, vcc
	v_add_co_u32_e32 v10, vcc, v10, v8
	v_mad_i64_i32 v[4:5], s[0:1], v18, s9, v[4:5]
	v_addc_co_u32_e32 v11, vcc, v11, v9, vcc
	v_add_co_u32_e32 v10, vcc, v10, v6
	v_addc_co_u32_e32 v11, vcc, v11, v7, vcc
	v_add_co_u32_e32 v4, vcc, v4, v8
	v_mad_i64_i32 v[2:3], s[0:1], v18, s9, v[2:3]
	v_addc_co_u32_e32 v5, vcc, v5, v9, vcc
	v_add_co_u32_e32 v4, vcc, v4, v6
	v_addc_co_u32_e32 v5, vcc, v5, v7, vcc
	v_add_co_u32_e32 v2, vcc, v2, v8
	v_addc_co_u32_e32 v3, vcc, v3, v9, vcc
	global_load_dword v8, v[12:13], off
	global_load_dword v9, v[10:11], off
	;; [unrolled: 1-line block ×3, first 2 shown]
	v_add_co_u32_e32 v2, vcc, v2, v6
	v_addc_co_u32_e32 v3, vcc, v3, v7, vcc
	global_load_dword v2, v[2:3], off
	v_cvt_f32_u32_e32 v4, v17
	v_cvt_f32_u32_e32 v3, v16
	v_add_co_u32_e32 v0, vcc, s18, v0
	v_sub_f32_e32 v4, v15, v4
	v_sub_f32_e32 v3, v14, v3
	v_min_f32_e32 v4, 1.0, v4
	v_min_f32_e32 v3, 1.0, v3
	v_max_f32_e32 v4, 0, v4
	v_max_f32_e32 v3, 0, v3
	v_sub_f32_e32 v5, 1.0, v4
	v_sub_f32_e32 v7, 1.0, v3
	s_waitcnt vmcnt(3)
	v_mul_f32_e32 v6, v8, v5
	s_waitcnt vmcnt(2)
	v_mul_f32_e32 v8, v9, v4
	v_mul_f32_e32 v8, v8, v7
	v_fmac_f32_e32 v8, v6, v7
	s_waitcnt vmcnt(1)
	v_mul_f32_e32 v5, v18, v5
	v_fmac_f32_e32 v8, v5, v3
	s_waitcnt vmcnt(0)
	v_mul_f32_e32 v2, v2, v4
	v_fmac_f32_e32 v8, v2, v3
	v_mov_b32_e32 v2, s19
	v_addc_co_u32_e32 v1, vcc, v2, v1, vcc
	global_store_dword v[0:1], v8, off
.LBB1_2:
	s_endpgm
	.section	.rodata,"a",@progbits
	.p2align	6, 0x0
	.amdhsa_kernel _ZL20upscale_f32_bilinearPKfPfiiiiiiiiiifffff
		.amdhsa_group_segment_fixed_size 0
		.amdhsa_private_segment_fixed_size 0
		.amdhsa_kernarg_size 336
		.amdhsa_user_sgpr_count 6
		.amdhsa_user_sgpr_private_segment_buffer 1
		.amdhsa_user_sgpr_dispatch_ptr 0
		.amdhsa_user_sgpr_queue_ptr 0
		.amdhsa_user_sgpr_kernarg_segment_ptr 1
		.amdhsa_user_sgpr_dispatch_id 0
		.amdhsa_user_sgpr_flat_scratch_init 0
		.amdhsa_user_sgpr_private_segment_size 0
		.amdhsa_uses_dynamic_stack 0
		.amdhsa_system_sgpr_private_segment_wavefront_offset 0
		.amdhsa_system_sgpr_workgroup_id_x 1
		.amdhsa_system_sgpr_workgroup_id_y 0
		.amdhsa_system_sgpr_workgroup_id_z 0
		.amdhsa_system_sgpr_workgroup_info 0
		.amdhsa_system_vgpr_workitem_id 0
		.amdhsa_next_free_vgpr 19
		.amdhsa_next_free_sgpr 28
		.amdhsa_reserve_vcc 1
		.amdhsa_reserve_flat_scratch 0
		.amdhsa_float_round_mode_32 0
		.amdhsa_float_round_mode_16_64 0
		.amdhsa_float_denorm_mode_32 3
		.amdhsa_float_denorm_mode_16_64 3
		.amdhsa_dx10_clamp 1
		.amdhsa_ieee_mode 1
		.amdhsa_fp16_overflow 0
		.amdhsa_exception_fp_ieee_invalid_op 0
		.amdhsa_exception_fp_denorm_src 0
		.amdhsa_exception_fp_ieee_div_zero 0
		.amdhsa_exception_fp_ieee_overflow 0
		.amdhsa_exception_fp_ieee_underflow 0
		.amdhsa_exception_fp_ieee_inexact 0
		.amdhsa_exception_int_div_zero 0
	.end_amdhsa_kernel
	.section	.text._ZL20upscale_f32_bilinearPKfPfiiiiiiiiiifffff,"axG",@progbits,_ZL20upscale_f32_bilinearPKfPfiiiiiiiiiifffff,comdat
.Lfunc_end1:
	.size	_ZL20upscale_f32_bilinearPKfPfiiiiiiiiiifffff, .Lfunc_end1-_ZL20upscale_f32_bilinearPKfPfiiiiiiiiiifffff
                                        ; -- End function
	.set _ZL20upscale_f32_bilinearPKfPfiiiiiiiiiifffff.num_vgpr, 19
	.set _ZL20upscale_f32_bilinearPKfPfiiiiiiiiiifffff.num_agpr, 0
	.set _ZL20upscale_f32_bilinearPKfPfiiiiiiiiiifffff.numbered_sgpr, 28
	.set _ZL20upscale_f32_bilinearPKfPfiiiiiiiiiifffff.num_named_barrier, 0
	.set _ZL20upscale_f32_bilinearPKfPfiiiiiiiiiifffff.private_seg_size, 0
	.set _ZL20upscale_f32_bilinearPKfPfiiiiiiiiiifffff.uses_vcc, 1
	.set _ZL20upscale_f32_bilinearPKfPfiiiiiiiiiifffff.uses_flat_scratch, 0
	.set _ZL20upscale_f32_bilinearPKfPfiiiiiiiiiifffff.has_dyn_sized_stack, 0
	.set _ZL20upscale_f32_bilinearPKfPfiiiiiiiiiifffff.has_recursion, 0
	.set _ZL20upscale_f32_bilinearPKfPfiiiiiiiiiifffff.has_indirect_call, 0
	.section	.AMDGPU.csdata,"",@progbits
; Kernel info:
; codeLenInByte = 1400
; TotalNumSgprs: 32
; NumVgprs: 19
; ScratchSize: 0
; MemoryBound: 0
; FloatMode: 240
; IeeeMode: 1
; LDSByteSize: 0 bytes/workgroup (compile time only)
; SGPRBlocks: 3
; VGPRBlocks: 4
; NumSGPRsForWavesPerEU: 32
; NumVGPRsForWavesPerEU: 19
; Occupancy: 10
; WaveLimiterHint : 0
; COMPUTE_PGM_RSRC2:SCRATCH_EN: 0
; COMPUTE_PGM_RSRC2:USER_SGPR: 6
; COMPUTE_PGM_RSRC2:TRAP_HANDLER: 0
; COMPUTE_PGM_RSRC2:TGID_X_EN: 1
; COMPUTE_PGM_RSRC2:TGID_Y_EN: 0
; COMPUTE_PGM_RSRC2:TGID_Z_EN: 0
; COMPUTE_PGM_RSRC2:TIDIG_COMP_CNT: 0
	.section	.text._ZL30upscale_f32_bilinear_antialiasPKfPfiiiiiiiiiifffff,"axG",@progbits,_ZL30upscale_f32_bilinear_antialiasPKfPfiiiiiiiiiifffff,comdat
	.globl	_ZL30upscale_f32_bilinear_antialiasPKfPfiiiiiiiiiifffff ; -- Begin function _ZL30upscale_f32_bilinear_antialiasPKfPfiiiiiiiiiifffff
	.p2align	8
	.type	_ZL30upscale_f32_bilinear_antialiasPKfPfiiiiiiiiiifffff,@function
_ZL30upscale_f32_bilinear_antialiasPKfPfiiiiiiiiiifffff: ; @_ZL30upscale_f32_bilinear_antialiasPKfPfiiiiiiiiiifffff
; %bb.0:
	s_load_dword s0, s[4:5], 0x5c
	s_load_dwordx4 s[20:23], s[4:5], 0x30
	s_load_dwordx8 s[8:15], s[4:5], 0x10
	v_mov_b32_e32 v17, 0
	v_mov_b32_e32 v1, v17
	s_waitcnt lgkmcnt(0)
	s_and_b32 s0, s0, 0xffff
	s_mul_i32 s6, s6, s0
	s_mul_i32 s28, s15, s14
	;; [unrolled: 1-line block ×4, first 2 shown]
	v_add_u32_e32 v0, s6, v0
	s_ashr_i32 s1, s0, 31
	v_cmp_gt_i64_e32 vcc, s[0:1], v[0:1]
	s_and_saveexec_b64 s[0:1], vcc
	s_cbranch_execz .LBB2_12
; %bb.1:
	s_abs_i32 s0, s14
	v_cvt_f32_u32_e32 v2, s0
	s_abs_i32 s2, s15
	v_cvt_f32_u32_e32 v3, s2
	s_sub_i32 s1, 0, s0
	v_rcp_iflag_f32_e32 v2, v2
	v_sub_u32_e32 v5, 0, v0
	v_rcp_iflag_f32_e32 v3, v3
	v_max_i32_e32 v6, v0, v5
	v_mul_f32_e32 v2, 0x4f7ffffe, v2
	v_cvt_u32_f32_e32 v2, v2
	v_mul_f32_e32 v3, 0x4f7ffffe, v3
	v_cvt_u32_f32_e32 v3, v3
	s_load_dwordx4 s[16:19], s[4:5], 0x40
	v_mul_lo_u32 v4, s1, v2
	s_sub_i32 s1, 0, s2
	v_mul_lo_u32 v5, s1, v3
	s_waitcnt lgkmcnt(0)
	s_mov_b32 s19, 0x2f800000
	v_mul_hi_u32 v4, v2, v4
	s_mov_b32 s15, 0xcf800000
	s_load_dwordx4 s[4:7], s[4:5], 0x0
	s_mov_b64 s[24:25], 0
	v_add_u32_e32 v2, v2, v4
	v_mul_hi_u32 v2, v6, v2
	v_mul_hi_u32 v4, v3, v5
	v_xor_b32_e32 v5, s14, v0
	v_ashrrev_i32_e32 v5, 31, v5
	v_mul_lo_u32 v7, v2, s0
	v_add_u32_e32 v3, v3, v4
	v_add_u32_e32 v4, 1, v2
	v_mov_b32_e32 v21, 0
	v_sub_u32_e32 v7, v6, v7
	v_cmp_le_u32_e32 vcc, s0, v7
	v_cndmask_b32_e32 v2, v2, v4, vcc
	v_subrev_u32_e32 v4, s0, v7
	v_cndmask_b32_e32 v4, v7, v4, vcc
	v_add_u32_e32 v7, 1, v2
	v_cmp_le_u32_e32 vcc, s0, v4
	v_cndmask_b32_e32 v2, v2, v7, vcc
	v_xor_b32_e32 v2, v2, v5
	v_sub_u32_e32 v8, v2, v5
	v_sub_u32_e32 v2, 0, v8
	v_max_i32_e32 v2, v8, v2
	v_mul_hi_u32 v3, v2, v3
	v_ashrrev_i32_e32 v5, 31, v8
	v_div_scale_f32 v4, s[0:1], s23, s23, 1.0
	v_mul_lo_u32 v3, v3, s2
	v_sub_u32_e32 v2, v2, v3
	v_subrev_u32_e32 v3, s2, v2
	v_cmp_le_u32_e32 vcc, s2, v2
	v_cndmask_b32_e32 v2, v2, v3, vcc
	v_subrev_u32_e32 v3, s2, v2
	v_cmp_le_u32_e32 vcc, s2, v2
	v_cndmask_b32_e32 v2, v2, v3, vcc
	v_xor_b32_e32 v2, v2, v5
	v_sub_u32_e32 v2, v2, v5
	v_cvt_f32_i32_e32 v2, v2
	v_div_scale_f32 v3, s[0:1], 1.0, s23, 1.0
	v_rcp_f32_e32 v9, v4
	v_add_f32_e32 v2, s18, v2
	v_div_scale_f32 v5, s[2:3], s23, s23, v2
	v_div_scale_f32 v7, vcc, v2, s23, v2
	v_fma_f32 v10, -v4, v9, 1.0
	v_fmac_f32_e32 v9, v10, v9
	v_mul_f32_e32 v10, v3, v9
	v_fma_f32 v12, -v4, v10, v3
	v_fmac_f32_e32 v10, v12, v9
	v_fma_f32 v3, -v4, v10, v3
	v_rcp_f32_e32 v11, v5
	v_fma_f32 v4, -v5, v11, 1.0
	v_fmac_f32_e32 v11, v4, v11
	v_mul_f32_e32 v4, v7, v11
	v_fma_f32 v12, -v5, v4, v7
	v_fmac_f32_e32 v4, v12, v11
	v_fma_f32 v5, -v5, v4, v7
	v_div_fmas_f32 v4, v5, v11, v4
	s_mov_b64 vcc, s[0:1]
	v_div_fmas_f32 v3, v3, v9, v10
	s_ashr_i32 s1, s13, 31
	s_mov_b32 s0, s13
	v_div_fixup_f32 v16, v4, s23, v2
	v_div_fixup_f32 v2, v3, s23, 1.0
	v_max_f32_e32 v7, 1.0, v2
	v_sub_f32_e32 v2, v16, v7
	v_add_f32_e32 v2, s18, v2
	v_add_f32_e32 v3, v7, v16
	v_trunc_f32_e32 v2, v2
	v_add_f32_e32 v3, s18, v3
	v_mul_f32_e64 v4, |v2|, s19
	v_trunc_f32_e32 v3, v3
	v_floor_f32_e32 v4, v4
	v_ashrrev_i32_e32 v5, 31, v2
	v_mul_f32_e64 v9, |v3|, s19
	v_fma_f32 v2, v4, s15, |v2|
	v_floor_f32_e32 v9, v9
	v_cvt_u32_f32_e32 v2, v2
	v_ashrrev_i32_e32 v10, 31, v3
	v_cvt_u32_f32_e32 v4, v4
	v_fma_f32 v3, v9, s15, |v3|
	v_cvt_u32_f32_e32 v3, v3
	v_xor_b32_e32 v2, v2, v5
	v_cvt_u32_f32_e32 v9, v9
	v_xor_b32_e32 v4, v4, v5
	v_sub_co_u32_e32 v2, vcc, v2, v5
	v_xor_b32_e32 v11, v3, v10
	v_subb_co_u32_e32 v3, vcc, v4, v5, vcc
	v_cmp_lt_i64_e32 vcc, 0, v[2:3]
	v_xor_b32_e32 v9, v9, v10
	v_cndmask_b32_e32 v3, 0, v3, vcc
	v_cndmask_b32_e32 v2, 0, v2, vcc
	v_sub_co_u32_e32 v4, vcc, v11, v10
	v_subb_co_u32_e32 v5, vcc, v9, v10, vcc
	v_cmp_lt_i64_e32 vcc, s[0:1], v[4:5]
	v_mov_b32_e32 v9, s1
	v_cndmask_b32_e32 v5, v5, v9, vcc
	v_mov_b32_e32 v9, s13
	v_cndmask_b32_e32 v4, v4, v9, vcc
	v_cmp_lt_i64_e32 vcc, v[2:3], v[4:5]
	s_and_saveexec_b64 s[26:27], vcc
	s_cbranch_execz .LBB2_11
; %bb.2:
	v_mul_lo_u32 v8, v8, s14
	v_div_scale_f32 v9, s[0:1], v7, v7, 1.0
	v_div_scale_f32 v11, s[2:3], 1.0, v7, 1.0
	v_sub_u32_e32 v8, v0, v8
	v_cvt_f32_u32_e32 v8, v8
	v_div_scale_f32 v10, s[0:1], s22, s22, 1.0
	v_div_scale_f32 v12, s[0:1], 1.0, s22, 1.0
	v_add_f32_e32 v8, s18, v8
	v_div_scale_f32 v13, s[30:31], s22, s22, v8
	v_div_scale_f32 v14, vcc, v8, s22, v8
	s_mov_b32 s14, s8
	v_rcp_f32_e32 v15, v9
	v_fma_f32 v18, -v9, v15, 1.0
	v_fmac_f32_e32 v15, v18, v15
	v_mul_f32_e32 v18, v11, v15
	v_fma_f32 v21, -v9, v18, v11
	v_rcp_f32_e32 v17, v10
	v_fmac_f32_e32 v18, v21, v15
	v_fma_f32 v9, -v9, v18, v11
	v_rcp_f32_e32 v20, v13
	v_fma_f32 v19, -v10, v17, 1.0
	v_fmac_f32_e32 v17, v19, v17
	v_mul_f32_e32 v19, v12, v17
	v_fma_f32 v11, -v13, v20, 1.0
	v_fmac_f32_e32 v20, v11, v20
	v_mul_f32_e32 v11, v14, v20
	v_fma_f32 v21, -v13, v11, v14
	v_fmac_f32_e32 v11, v21, v20
	v_fma_f32 v13, -v13, v11, v14
	v_div_fmas_f32 v11, v13, v20, v11
	v_fma_f32 v13, -v10, v19, v12
	s_mov_b64 vcc, s[2:3]
	v_fmac_f32_e32 v19, v13, v17
	v_div_fmas_f32 v9, v9, v15, v18
	v_fma_f32 v10, -v10, v19, v12
	s_mov_b64 vcc, s[0:1]
	v_div_fmas_f32 v10, v10, v17, v19
	s_abs_i32 s2, s29
	v_cvt_f32_u32_e32 v12, s2
	s_sub_i32 s0, 0, s2
	v_ashrrev_i32_e32 v15, 31, v0
	s_abs_i32 s3, s28
	v_rcp_iflag_f32_e32 v12, v12
	v_cvt_f32_u32_e32 v17, s3
	s_sub_i32 s13, 0, s3
	v_mul_f32_e32 v12, 0x4f7ffffe, v12
	v_cvt_u32_f32_e32 v12, v12
	v_rcp_iflag_f32_e32 v17, v17
	v_mul_lo_u32 v13, s0, v12
	v_div_fixup_f32 v10, v10, s22, 1.0
	v_max_f32_e32 v10, 1.0, v10
	v_div_scale_f32 v14, s[0:1], v10, v10, 1.0
	v_mul_hi_u32 v13, v12, v13
	s_ashr_i32 s0, s29, 31
	v_xor_b32_e32 v21, s0, v15
	v_mul_f32_e32 v17, 0x4f7ffffe, v17
	v_add_u32_e32 v12, v12, v13
	v_div_scale_f32 v13, vcc, 1.0, v10, 1.0
	v_mul_hi_u32 v12, v6, v12
	v_cvt_u32_f32_e32 v17, v17
	v_mul_lo_u32 v18, v12, s2
	v_add_u32_e32 v19, 1, v12
	v_rcp_f32_e32 v20, v14
	v_sub_u32_e32 v22, v6, v18
	v_div_fixup_f32 v18, v11, s22, v8
	v_cmp_le_u32_e64 s[0:1], s2, v22
	v_fma_f32 v11, -v14, v20, 1.0
	v_fmac_f32_e32 v20, v11, v20
	v_cndmask_b32_e64 v12, v12, v19, s[0:1]
	v_mul_f32_e32 v11, v13, v20
	v_fma_f32 v19, -v14, v11, v13
	v_fmac_f32_e32 v11, v19, v20
	v_fma_f32 v13, -v14, v11, v13
	v_div_fmas_f32 v11, v13, v20, v11
	v_sub_f32_e32 v8, v18, v10
	v_add_f32_e32 v8, s18, v8
	v_trunc_f32_e32 v8, v8
	v_mul_f32_e64 v13, |v8|, s19
	v_floor_f32_e32 v13, v13
	v_fma_f32 v14, v13, s15, |v8|
	v_cvt_u32_f32_e32 v14, v14
	v_cvt_u32_f32_e32 v13, v13
	v_div_fixup_f32 v19, v9, v7, 1.0
	v_ashrrev_i32_e32 v7, 31, v8
	v_xor_b32_e32 v8, v14, v7
	v_xor_b32_e32 v9, v13, v7
	v_sub_co_u32_e32 v8, vcc, v8, v7
	v_subb_co_u32_e32 v9, vcc, v9, v7, vcc
	v_mul_lo_u32 v7, s13, v17
	v_div_fixup_f32 v20, v11, v10, 1.0
	v_subrev_u32_e32 v11, s2, v22
	v_cndmask_b32_e64 v11, v22, v11, s[0:1]
	v_add_u32_e32 v13, 1, v12
	v_mul_hi_u32 v7, v17, v7
	v_cmp_le_u32_e32 vcc, s2, v11
	s_abs_i32 s13, s20
	v_cndmask_b32_e32 v11, v12, v13, vcc
	v_cvt_f32_u32_e32 v13, s13
	v_add_u32_e32 v7, v17, v7
	v_mul_hi_u32 v7, v6, v7
	s_ashr_i32 s0, s28, 31
	v_rcp_iflag_f32_e32 v13, v13
	v_xor_b32_e32 v14, s0, v15
	v_mul_lo_u32 v12, v7, s3
	s_sub_i32 s0, 0, s13
	v_mul_f32_e32 v13, 0x4f7ffffe, v13
	v_cvt_u32_f32_e32 v13, v13
	v_sub_u32_e32 v6, v6, v12
	v_add_u32_e32 v12, 1, v7
	v_cmp_le_u32_e32 vcc, s3, v6
	v_mul_lo_u32 v15, s0, v13
	v_cndmask_b32_e32 v7, v7, v12, vcc
	v_subrev_u32_e32 v12, s3, v6
	v_cndmask_b32_e32 v6, v6, v12, vcc
	v_add_u32_e32 v12, 1, v7
	v_cmp_le_u32_e32 vcc, s3, v6
	v_cndmask_b32_e32 v6, v7, v12, vcc
	v_mul_hi_u32 v7, v13, v15
	v_xor_b32_e32 v6, v6, v14
	v_sub_u32_e32 v6, v6, v14
	v_sub_u32_e32 v12, 0, v6
	v_max_i32_e32 v12, v6, v12
	v_add_u32_e32 v7, v13, v7
	v_mul_hi_u32 v13, v12, v7
	v_xor_b32_e32 v11, v11, v21
	v_sub_u32_e32 v11, v11, v21
	v_cvt_f32_i32_e32 v11, v11
	v_mul_lo_u32 v13, v13, s13
	v_cmp_lt_i64_e32 vcc, 0, v[8:9]
	v_ashrrev_i32_e32 v6, 31, v6
	v_cndmask_b32_e32 v7, 0, v9, vcc
	v_sub_u32_e32 v12, v12, v13
	v_subrev_u32_e32 v13, s13, v12
	v_cmp_le_u32_e64 s[2:3], s13, v12
	v_div_scale_f32 v9, s[0:1], s17, s17, v11
	v_cndmask_b32_e64 v12, v12, v13, s[2:3]
	v_subrev_u32_e32 v13, s13, v12
	v_cmp_le_u32_e64 s[2:3], s13, v12
	v_cndmask_b32_e64 v12, v12, v13, s[2:3]
	v_xor_b32_e32 v12, v12, v6
	v_sub_u32_e32 v6, v12, v6
	v_cvt_f32_i32_e32 v12, v6
	v_div_scale_f32 v14, s[0:1], v11, s17, v11
	v_cndmask_b32_e32 v6, 0, v8, vcc
	v_add_f32_e32 v8, v10, v18
	v_div_scale_f32 v10, s[2:3], s16, s16, v12
	v_div_scale_f32 v17, s[2:3], v12, s16, v12
	v_rcp_f32_e32 v15, v9
	s_mov_b64 vcc, s[0:1]
	v_add_f32_e32 v8, s18, v8
	v_trunc_f32_e32 v8, v8
	v_fma_f32 v21, -v9, v15, 1.0
	v_fmac_f32_e32 v15, v21, v15
	v_mul_f32_e64 v13, |v8|, s19
	v_floor_f32_e32 v13, v13
	v_mul_f32_e32 v21, v14, v15
	v_fma_f32 v22, -v9, v21, v14
	v_fmac_f32_e32 v21, v22, v15
	v_fma_f32 v9, -v9, v21, v14
	v_rcp_f32_e32 v14, v10
	v_div_fmas_f32 v15, v9, v15, v21
	s_mov_b64 vcc, s[2:3]
	v_fma_f32 v22, v13, s15, |v8|
	v_fma_f32 v9, -v10, v14, 1.0
	v_fmac_f32_e32 v14, v9, v14
	v_mul_f32_e32 v9, v17, v14
	v_fma_f32 v21, -v10, v9, v17
	v_fmac_f32_e32 v9, v21, v14
	v_fma_f32 v10, -v10, v9, v17
	v_div_fmas_f32 v10, v10, v14, v9
	v_cvt_u32_f32_e32 v22, v22
	v_cvt_u32_f32_e32 v13, v13
	v_ashrrev_i32_e32 v9, 31, v8
	s_ashr_i32 s13, s12, 31
	v_xor_b32_e32 v8, v22, v9
	v_xor_b32_e32 v13, v13, v9
	v_sub_co_u32_e32 v8, vcc, v8, v9
	v_subb_co_u32_e32 v9, vcc, v13, v9, vcc
	v_cmp_lt_i64_e32 vcc, s[12:13], v[8:9]
	v_mov_b32_e32 v13, s13
	v_cndmask_b32_e32 v9, v9, v13, vcc
	v_mov_b32_e32 v13, s12
	v_div_fixup_f32 v11, v15, s17, v11
	v_div_fixup_f32 v10, v10, s16, v12
	s_ashr_i32 s13, s9, 31
	v_cndmask_b32_e32 v8, v8, v13, vcc
	v_cvt_i32_f32_e32 v13, v11
	v_cvt_i32_f32_e32 v12, v10
	v_mul_lo_u32 v14, v3, s9
	v_mul_lo_u32 v15, v2, s13
	v_mad_u64_u32 v[10:11], s[0:1], v2, s9, 0
	s_ashr_i32 s12, s8, 31
	v_mul_lo_u32 v13, s11, v13
	v_add3_u32 v11, v11, v15, v14
	v_mul_lo_u32 v14, v6, s12
	v_mul_lo_u32 v15, v7, s8
	v_mad_u64_u32 v[10:11], s[0:1], v6, s8, v[10:11]
	v_mul_lo_u32 v12, s10, v12
	v_ashrrev_i32_e32 v21, 31, v13
	v_add3_u32 v11, v15, v11, v14
	v_add_co_u32_e64 v10, s[0:1], v10, v13
	v_addc_co_u32_e64 v11, s[0:1], v11, v21, s[0:1]
	v_ashrrev_i32_e32 v17, 31, v12
	v_add_co_u32_e64 v10, s[0:1], v10, v12
	v_addc_co_u32_e64 v11, s[0:1], v11, v17, s[0:1]
	v_cmp_lt_i64_e32 vcc, v[6:7], v[8:9]
	s_waitcnt lgkmcnt(0)
	v_mov_b32_e32 v12, s5
	v_add_co_u32_e64 v10, s[0:1], s4, v10
	s_mov_b32 s10, s9
	v_addc_co_u32_e64 v11, s[0:1], v12, v11, s[0:1]
	v_mov_b32_e32 v17, 0
	v_mov_b32_e32 v21, 0
	s_branch .LBB2_5
.LBB2_3:                                ;   in Loop: Header=BB2_5 Depth=1
	s_or_b64 exec, exec, s[4:5]
.LBB2_4:                                ;   in Loop: Header=BB2_5 Depth=1
	s_or_b64 exec, exec, s[2:3]
	v_add_co_u32_e64 v2, s[0:1], 1, v2
	v_addc_co_u32_e64 v3, s[0:1], 0, v3, s[0:1]
	v_cmp_ge_i64_e64 s[0:1], v[2:3], v[4:5]
	v_mov_b32_e32 v12, s13
	s_or_b64 s[24:25], s[0:1], s[24:25]
	v_add_co_u32_e64 v10, s[0:1], s10, v10
	v_addc_co_u32_e64 v11, s[0:1], v11, v12, s[0:1]
	s_andn2_b64 exec, exec, s[24:25]
	s_cbranch_execz .LBB2_10
.LBB2_5:                                ; =>This Loop Header: Depth=1
                                        ;     Child Loop BB2_8 Depth 2
	s_and_saveexec_b64 s[2:3], vcc
	s_cbranch_execz .LBB2_4
; %bb.6:                                ;   in Loop: Header=BB2_5 Depth=1
	v_ffbh_u32_e32 v12, v3
	v_min_u32_e32 v14, 32, v12
	v_lshlrev_b64 v[12:13], v14, v[2:3]
	v_sub_u32_e32 v14, 32, v14
	v_min_u32_e32 v12, 1, v12
	v_or_b32_e32 v12, v13, v12
	v_cvt_f32_u32_e32 v15, v12
	v_mov_b32_e32 v13, v11
	s_mov_b64 s[4:5], 0
	v_mov_b32_e32 v12, v10
	v_ldexp_f32 v14, v15, v14
	v_sub_f32_e32 v14, v14, v16
	v_add_f32_e32 v14, s18, v14
	v_mul_f32_e32 v14, v19, v14
	v_sub_f32_e64 v14, 1.0, |v14|
	v_max_f32_e32 v22, 0, v14
	v_mov_b32_e32 v15, v7
	v_mov_b32_e32 v14, v6
	s_branch .LBB2_8
.LBB2_7:                                ;   in Loop: Header=BB2_8 Depth=2
	s_or_b64 exec, exec, s[8:9]
	v_add_co_u32_e64 v14, s[0:1], 1, v14
	v_addc_co_u32_e64 v15, s[0:1], 0, v15, s[0:1]
	v_cmp_ge_i64_e64 s[0:1], v[14:15], v[8:9]
	v_mov_b32_e32 v23, s12
	s_or_b64 s[4:5], s[0:1], s[4:5]
	v_add_co_u32_e64 v12, s[0:1], s14, v12
	v_addc_co_u32_e64 v13, s[0:1], v13, v23, s[0:1]
	s_andn2_b64 exec, exec, s[4:5]
	s_cbranch_execz .LBB2_3
.LBB2_8:                                ;   Parent Loop BB2_5 Depth=1
                                        ; =>  This Inner Loop Header: Depth=2
	v_ffbh_u32_e32 v23, v15
	v_min_u32_e32 v25, 32, v23
	v_lshlrev_b64 v[23:24], v25, v[14:15]
	v_min_u32_e32 v23, 1, v23
	v_or_b32_e32 v23, v24, v23
	v_cvt_f32_u32_e32 v23, v23
	v_sub_u32_e32 v24, 32, v25
	v_ldexp_f32 v23, v23, v24
	v_sub_f32_e32 v23, v23, v18
	v_add_f32_e32 v23, s18, v23
	v_mul_f32_e32 v23, v20, v23
	v_sub_f32_e64 v23, 1.0, |v23|
	v_max_f32_e32 v23, 0, v23
	v_mul_f32_e32 v23, v22, v23
	v_cmp_nge_f32_e64 s[0:1], 0, v23
	s_and_saveexec_b64 s[8:9], s[0:1]
	s_cbranch_execz .LBB2_7
; %bb.9:                                ;   in Loop: Header=BB2_8 Depth=2
	global_load_dword v24, v[12:13], off
	v_add_f32_e32 v21, v21, v23
	s_waitcnt vmcnt(0)
	v_fmac_f32_e32 v17, v23, v24
	s_branch .LBB2_7
.LBB2_10:
	s_or_b64 exec, exec, s[24:25]
.LBB2_11:
	s_or_b64 exec, exec, s[26:27]
	v_div_scale_f32 v2, s[0:1], v21, v21, v17
	v_div_scale_f32 v3, vcc, v17, v21, v17
	v_lshlrev_b64 v[0:1], 2, v[0:1]
	v_rcp_f32_e32 v4, v2
	v_fma_f32 v5, -v2, v4, 1.0
	v_fmac_f32_e32 v4, v5, v4
	v_mul_f32_e32 v5, v3, v4
	v_fma_f32 v6, -v2, v5, v3
	v_fmac_f32_e32 v5, v6, v4
	v_fma_f32 v2, -v2, v5, v3
	v_div_fmas_f32 v2, v2, v4, v5
	v_cmp_lt_f32_e32 vcc, 0, v21
	s_waitcnt lgkmcnt(0)
	v_mov_b32_e32 v3, s7
	v_div_fixup_f32 v2, v2, v21, v17
	v_cndmask_b32_e32 v2, v17, v2, vcc
	v_add_co_u32_e32 v0, vcc, s6, v0
	v_addc_co_u32_e32 v1, vcc, v3, v1, vcc
	global_store_dword v[0:1], v2, off
.LBB2_12:
	s_endpgm
	.section	.rodata,"a",@progbits
	.p2align	6, 0x0
	.amdhsa_kernel _ZL30upscale_f32_bilinear_antialiasPKfPfiiiiiiiiiifffff
		.amdhsa_group_segment_fixed_size 0
		.amdhsa_private_segment_fixed_size 0
		.amdhsa_kernarg_size 336
		.amdhsa_user_sgpr_count 6
		.amdhsa_user_sgpr_private_segment_buffer 1
		.amdhsa_user_sgpr_dispatch_ptr 0
		.amdhsa_user_sgpr_queue_ptr 0
		.amdhsa_user_sgpr_kernarg_segment_ptr 1
		.amdhsa_user_sgpr_dispatch_id 0
		.amdhsa_user_sgpr_flat_scratch_init 0
		.amdhsa_user_sgpr_private_segment_size 0
		.amdhsa_uses_dynamic_stack 0
		.amdhsa_system_sgpr_private_segment_wavefront_offset 0
		.amdhsa_system_sgpr_workgroup_id_x 1
		.amdhsa_system_sgpr_workgroup_id_y 0
		.amdhsa_system_sgpr_workgroup_id_z 0
		.amdhsa_system_sgpr_workgroup_info 0
		.amdhsa_system_vgpr_workitem_id 0
		.amdhsa_next_free_vgpr 26
		.amdhsa_next_free_sgpr 32
		.amdhsa_reserve_vcc 1
		.amdhsa_reserve_flat_scratch 0
		.amdhsa_float_round_mode_32 0
		.amdhsa_float_round_mode_16_64 0
		.amdhsa_float_denorm_mode_32 3
		.amdhsa_float_denorm_mode_16_64 3
		.amdhsa_dx10_clamp 1
		.amdhsa_ieee_mode 1
		.amdhsa_fp16_overflow 0
		.amdhsa_exception_fp_ieee_invalid_op 0
		.amdhsa_exception_fp_denorm_src 0
		.amdhsa_exception_fp_ieee_div_zero 0
		.amdhsa_exception_fp_ieee_overflow 0
		.amdhsa_exception_fp_ieee_underflow 0
		.amdhsa_exception_fp_ieee_inexact 0
		.amdhsa_exception_int_div_zero 0
	.end_amdhsa_kernel
	.section	.text._ZL30upscale_f32_bilinear_antialiasPKfPfiiiiiiiiiifffff,"axG",@progbits,_ZL30upscale_f32_bilinear_antialiasPKfPfiiiiiiiiiifffff,comdat
.Lfunc_end2:
	.size	_ZL30upscale_f32_bilinear_antialiasPKfPfiiiiiiiiiifffff, .Lfunc_end2-_ZL30upscale_f32_bilinear_antialiasPKfPfiiiiiiiiiifffff
                                        ; -- End function
	.set _ZL30upscale_f32_bilinear_antialiasPKfPfiiiiiiiiiifffff.num_vgpr, 26
	.set _ZL30upscale_f32_bilinear_antialiasPKfPfiiiiiiiiiifffff.num_agpr, 0
	.set _ZL30upscale_f32_bilinear_antialiasPKfPfiiiiiiiiiifffff.numbered_sgpr, 32
	.set _ZL30upscale_f32_bilinear_antialiasPKfPfiiiiiiiiiifffff.num_named_barrier, 0
	.set _ZL30upscale_f32_bilinear_antialiasPKfPfiiiiiiiiiifffff.private_seg_size, 0
	.set _ZL30upscale_f32_bilinear_antialiasPKfPfiiiiiiiiiifffff.uses_vcc, 1
	.set _ZL30upscale_f32_bilinear_antialiasPKfPfiiiiiiiiiifffff.uses_flat_scratch, 0
	.set _ZL30upscale_f32_bilinear_antialiasPKfPfiiiiiiiiiifffff.has_dyn_sized_stack, 0
	.set _ZL30upscale_f32_bilinear_antialiasPKfPfiiiiiiiiiifffff.has_recursion, 0
	.set _ZL30upscale_f32_bilinear_antialiasPKfPfiiiiiiiiiifffff.has_indirect_call, 0
	.section	.AMDGPU.csdata,"",@progbits
; Kernel info:
; codeLenInByte = 2340
; TotalNumSgprs: 36
; NumVgprs: 26
; ScratchSize: 0
; MemoryBound: 0
; FloatMode: 240
; IeeeMode: 1
; LDSByteSize: 0 bytes/workgroup (compile time only)
; SGPRBlocks: 4
; VGPRBlocks: 6
; NumSGPRsForWavesPerEU: 36
; NumVGPRsForWavesPerEU: 26
; Occupancy: 9
; WaveLimiterHint : 0
; COMPUTE_PGM_RSRC2:SCRATCH_EN: 0
; COMPUTE_PGM_RSRC2:USER_SGPR: 6
; COMPUTE_PGM_RSRC2:TRAP_HANDLER: 0
; COMPUTE_PGM_RSRC2:TGID_X_EN: 1
; COMPUTE_PGM_RSRC2:TGID_Y_EN: 0
; COMPUTE_PGM_RSRC2:TGID_Z_EN: 0
; COMPUTE_PGM_RSRC2:TIDIG_COMP_CNT: 0
	.section	.text._ZL19upscale_f32_bicubicPKfPfiiiiiiiiiifffff,"axG",@progbits,_ZL19upscale_f32_bicubicPKfPfiiiiiiiiiifffff,comdat
	.globl	_ZL19upscale_f32_bicubicPKfPfiiiiiiiiiifffff ; -- Begin function _ZL19upscale_f32_bicubicPKfPfiiiiiiiiiifffff
	.p2align	8
	.type	_ZL19upscale_f32_bicubicPKfPfiiiiiiiiiifffff,@function
_ZL19upscale_f32_bicubicPKfPfiiiiiiiiiifffff: ; @_ZL19upscale_f32_bicubicPKfPfiiiiiiiiiifffff
; %bb.0:
	s_load_dword s0, s[4:5], 0x5c
	s_load_dwordx4 s[16:19], s[4:5], 0x30
	s_load_dwordx8 s[8:15], s[4:5], 0x10
	v_mov_b32_e32 v1, 0
	s_waitcnt lgkmcnt(0)
	s_and_b32 s0, s0, 0xffff
	s_mul_i32 s6, s6, s0
	s_mul_i32 s7, s15, s14
	v_add_u32_e32 v0, s6, v0
	s_mul_i32 s6, s7, s16
	s_mul_i32 s0, s6, s17
	s_ashr_i32 s1, s0, 31
	v_cmp_gt_i64_e32 vcc, s[0:1], v[0:1]
	s_and_saveexec_b64 s[0:1], vcc
	s_cbranch_execz .LBB3_2
; %bb.1:
	s_load_dwordx4 s[20:23], s[4:5], 0x40
	s_load_dwordx4 s[0:3], s[4:5], 0x0
	v_xor_b32_e32 v4, s14, v0
	v_ashrrev_i32_e32 v4, 31, v4
	v_mov_b32_e32 v18, 0xc0100000
	v_mov_b32_e32 v19, 0xc0100000
	s_waitcnt lgkmcnt(0)
	v_mov_b32_e32 v2, s0
	s_abs_i32 s0, s14
	v_cvt_f32_u32_e32 v5, s0
	v_mov_b32_e32 v3, s1
	s_sub_i32 s1, 0, s0
	v_rcp_iflag_f32_e32 v5, v5
	v_mul_f32_e32 v5, 0x4f7ffffe, v5
	v_cvt_u32_f32_e32 v5, v5
	v_mul_lo_u32 v6, s1, v5
	v_mul_hi_u32 v6, v5, v6
	v_add_u32_e32 v5, v5, v6
	v_sub_u32_e32 v6, 0, v0
	v_max_i32_e32 v6, v0, v6
	v_mul_hi_u32 v5, v6, v5
	v_mul_lo_u32 v7, v5, s0
	v_add_u32_e32 v8, 1, v5
	v_sub_u32_e32 v7, v6, v7
	v_cmp_le_u32_e32 vcc, s0, v7
	v_cndmask_b32_e32 v5, v5, v8, vcc
	v_subrev_u32_e32 v8, s0, v7
	v_cndmask_b32_e32 v7, v7, v8, vcc
	v_cmp_le_u32_e32 vcc, s0, v7
	v_add_u32_e32 v7, 1, v5
	v_cndmask_b32_e32 v5, v5, v7, vcc
	v_xor_b32_e32 v5, v5, v4
	v_sub_u32_e32 v5, v5, v4
	v_sub_u32_e32 v8, 0, v5
	s_abs_i32 s0, s15
	v_mul_lo_u32 v4, v5, s14
	v_ashrrev_i32_e32 v7, 31, v5
	v_max_i32_e32 v5, v5, v8
	v_cvt_f32_u32_e32 v8, s0
	s_sub_i32 s1, 0, s0
	v_sub_u32_e32 v4, v0, v4
	v_cvt_f32_u32_e32 v4, v4
	v_rcp_iflag_f32_e32 v8, v8
	v_add_f32_e32 v4, s22, v4
	v_mul_f32_e32 v8, 0x4f7ffffe, v8
	v_cvt_u32_f32_e32 v8, v8
	v_mul_lo_u32 v9, s1, v8
	v_mul_hi_u32 v9, v8, v9
	v_add_u32_e32 v8, v8, v9
	v_mul_hi_u32 v8, v5, v8
	v_mul_lo_u32 v8, v8, s0
	v_sub_u32_e32 v5, v5, v8
	v_cmp_le_u32_e32 vcc, s0, v5
	v_subrev_u32_e32 v8, s0, v5
	v_cndmask_b32_e32 v5, v5, v8, vcc
	v_cmp_le_u32_e32 vcc, s0, v5
	v_subrev_u32_e32 v8, s0, v5
	v_cndmask_b32_e32 v5, v5, v8, vcc
	v_xor_b32_e32 v5, v5, v7
	v_sub_u32_e32 v5, v5, v7
	v_ashrrev_i32_e32 v7, 31, v0
	s_ashr_i32 s0, s7, 31
	v_xor_b32_e32 v8, s0, v7
	s_abs_i32 s0, s7
	v_cvt_f32_u32_e32 v9, s0
	s_sub_i32 s1, 0, s0
	v_cvt_f32_i32_e32 v5, v5
	v_lshlrev_b64 v[0:1], 2, v[0:1]
	v_rcp_iflag_f32_e32 v9, v9
	v_add_f32_e32 v5, s22, v5
	v_mul_f32_e32 v9, 0x4f7ffffe, v9
	v_cvt_u32_f32_e32 v9, v9
	v_mul_lo_u32 v10, s1, v9
	v_mul_hi_u32 v10, v9, v10
	v_add_u32_e32 v9, v9, v10
	v_mul_hi_u32 v9, v6, v9
	v_mul_lo_u32 v10, v9, s0
	v_add_u32_e32 v11, 1, v9
	v_sub_u32_e32 v10, v6, v10
	v_cmp_le_u32_e32 vcc, s0, v10
	v_cndmask_b32_e32 v9, v9, v11, vcc
	v_subrev_u32_e32 v11, s0, v10
	v_cndmask_b32_e32 v10, v10, v11, vcc
	v_cmp_le_u32_e32 vcc, s0, v10
	v_add_u32_e32 v10, 1, v9
	v_cndmask_b32_e32 v9, v9, v10, vcc
	v_xor_b32_e32 v9, v9, v8
	v_sub_u32_e32 v8, v9, v8
	v_sub_u32_e32 v10, 0, v8
	s_abs_i32 s0, s16
	v_ashrrev_i32_e32 v9, 31, v8
	v_max_i32_e32 v8, v8, v10
	v_cvt_f32_u32_e32 v10, s0
	s_sub_i32 s1, 0, s0
	v_rcp_iflag_f32_e32 v10, v10
	v_mul_f32_e32 v10, 0x4f7ffffe, v10
	v_cvt_u32_f32_e32 v10, v10
	v_mul_lo_u32 v11, s1, v10
	v_mul_hi_u32 v11, v10, v11
	v_add_u32_e32 v10, v10, v11
	v_mul_hi_u32 v10, v8, v10
	v_mul_lo_u32 v10, v10, s0
	v_sub_u32_e32 v8, v8, v10
	v_cmp_le_u32_e32 vcc, s0, v8
	v_subrev_u32_e32 v10, s0, v8
	v_cndmask_b32_e32 v8, v8, v10, vcc
	v_cmp_le_u32_e32 vcc, s0, v8
	v_subrev_u32_e32 v10, s0, v8
	v_cndmask_b32_e32 v8, v8, v10, vcc
	s_ashr_i32 s0, s6, 31
	v_xor_b32_e32 v8, v8, v9
	v_xor_b32_e32 v7, s0, v7
	s_abs_i32 s0, s6
	v_sub_u32_e32 v8, v8, v9
	v_cvt_f32_u32_e32 v9, s0
	s_sub_i32 s1, 0, s0
	v_rcp_iflag_f32_e32 v9, v9
	v_mul_f32_e32 v9, 0x4f7ffffe, v9
	v_cvt_u32_f32_e32 v9, v9
	v_mul_lo_u32 v10, s1, v9
	v_mul_hi_u32 v10, v9, v10
	v_add_u32_e32 v9, v9, v10
	v_mul_hi_u32 v9, v6, v9
	v_mul_lo_u32 v10, v9, s0
	v_sub_u32_e32 v6, v6, v10
	v_cmp_le_u32_e32 vcc, s0, v6
	v_add_u32_e32 v10, 1, v9
	v_cndmask_b32_e32 v9, v9, v10, vcc
	v_subrev_u32_e32 v10, s0, v6
	v_cndmask_b32_e32 v6, v6, v10, vcc
	v_cmp_le_u32_e32 vcc, s0, v6
	v_add_u32_e32 v6, 1, v9
	v_cndmask_b32_e32 v6, v9, v6, vcc
	v_xor_b32_e32 v6, v6, v7
	v_sub_u32_e32 v7, v6, v7
	v_cvt_f32_i32_e32 v6, v8
	v_cvt_f32_i32_e32 v7, v7
	v_div_scale_f32 v8, s[0:1], s20, s20, v6
	v_rcp_f32_e32 v9, v8
	v_fma_f32 v10, -v8, v9, 1.0
	v_fmac_f32_e32 v9, v10, v9
	v_div_scale_f32 v10, vcc, v6, s20, v6
	v_mul_f32_e32 v11, v10, v9
	v_fma_f32 v12, -v8, v11, v10
	v_fmac_f32_e32 v11, v12, v9
	v_fma_f32 v8, -v8, v11, v10
	v_div_fmas_f32 v8, v8, v9, v11
	v_div_fixup_f32 v6, v8, s20, v6
	v_div_scale_f32 v8, s[0:1], s21, s21, v7
	v_cvt_i32_f32_e32 v6, v6
	v_mad_i64_i32 v[2:3], s[0:1], v6, s10, v[2:3]
	v_rcp_f32_e32 v9, v8
	v_fma_f32 v10, -v8, v9, 1.0
	v_fmac_f32_e32 v9, v10, v9
	v_div_scale_f32 v10, vcc, v7, s21, v7
	v_mul_f32_e32 v11, v10, v9
	v_fma_f32 v12, -v8, v11, v10
	v_fmac_f32_e32 v11, v12, v9
	v_fma_f32 v8, -v8, v11, v10
	v_div_fmas_f32 v8, v8, v9, v11
	v_div_fixup_f32 v7, v8, s21, v7
	v_div_scale_f32 v8, s[0:1], s19, s19, v5
	v_cvt_i32_f32_e32 v7, v7
	v_rcp_f32_e32 v9, v8
	v_fma_f32 v10, -v8, v9, 1.0
	v_fmac_f32_e32 v9, v10, v9
	v_div_scale_f32 v10, vcc, v5, s19, v5
	v_mul_f32_e32 v11, v10, v9
	v_fma_f32 v12, -v8, v11, v10
	v_fmac_f32_e32 v11, v12, v9
	v_fma_f32 v8, -v8, v11, v10
	v_div_fmas_f32 v8, v8, v9, v11
	v_div_fixup_f32 v5, v8, s19, v5
	v_subrev_f32_e32 v5, s22, v5
	v_floor_f32_e32 v8, v5
	v_cvt_i32_f32_e32 v11, v8
	v_cvt_f32_i32_e32 v8, v11
	v_sub_f32_e32 v10, v5, v8
	v_div_scale_f32 v5, s[0:1], s18, s18, v4
	v_rcp_f32_e32 v8, v5
	v_fma_f32 v9, -v5, v8, 1.0
	v_fmac_f32_e32 v8, v9, v8
	v_div_scale_f32 v9, vcc, v4, s18, v4
	v_mul_f32_e32 v12, v9, v8
	v_fma_f32 v13, -v5, v12, v9
	v_fmac_f32_e32 v12, v13, v8
	v_fma_f32 v5, -v5, v12, v9
	v_div_fmas_f32 v5, v5, v8, v12
	v_mad_i64_i32 v[8:9], s[0:1], v7, s11, v[2:3]
	s_add_i32 s1, s12, -1
	v_add_u32_e32 v3, -1, v11
	s_add_i32 s0, s13, -1
	v_min_i32_e32 v3, s0, v3
	v_div_fixup_f32 v4, v5, s18, v4
	v_subrev_f32_e32 v4, s22, v4
	v_floor_f32_e32 v5, v4
	v_cvt_i32_f32_e32 v16, v5
	v_cvt_f32_i32_e32 v5, v16
	v_add_u32_e32 v2, -1, v16
	v_min_i32_e32 v2, s1, v2
	v_max_i32_e32 v2, 0, v2
	v_sub_f32_e32 v20, v4, v5
	v_max_i32_e32 v4, 0, v3
	v_mad_i64_i32 v[2:3], s[4:5], v2, s8, v[8:9]
	v_mad_i64_i32 v[12:13], s[4:5], v4, s9, 0
	v_add_co_u32_e32 v4, vcc, v2, v12
	v_addc_co_u32_e32 v5, vcc, v3, v13, vcc
	global_load_dword v21, v[4:5], off
	v_min_i32_e32 v4, s1, v16
	v_max_i32_e32 v4, 0, v4
	v_mad_i64_i32 v[4:5], s[4:5], v4, s8, v[8:9]
	v_add_co_u32_e32 v6, vcc, v4, v12
	v_addc_co_u32_e32 v7, vcc, v5, v13, vcc
	global_load_dword v22, v[6:7], off
	v_add_u32_e32 v6, 1, v16
	v_min_i32_e32 v6, s1, v6
	v_max_i32_e32 v6, 0, v6
	v_mad_i64_i32 v[6:7], s[4:5], v6, s8, v[8:9]
	v_add_co_u32_e32 v14, vcc, v6, v12
	v_addc_co_u32_e32 v15, vcc, v7, v13, vcc
	global_load_dword v23, v[14:15], off
	v_add_u32_e32 v14, 2, v16
	v_min_i32_e32 v14, s1, v14
	v_max_i32_e32 v14, 0, v14
	v_mad_i64_i32 v[8:9], s[4:5], v14, s8, v[8:9]
	v_add_f32_e32 v15, 1.0, v20
	v_mov_b32_e32 v14, 0xc0c00000
	v_add_co_u32_e32 v12, vcc, v8, v12
	v_addc_co_u32_e32 v13, vcc, v9, v13, vcc
	global_load_dword v24, v[12:13], off
	v_mov_b32_e32 v12, 0x40700000
	v_fmac_f32_e32 v12, 0xbf400000, v15
	v_fma_f32 v16, v15, v12, v14
	v_mov_b32_e32 v12, 0x40400000
	v_fma_f32 v17, v15, v16, v12
	v_add_f32_e32 v16, 0, v20
	v_fmac_f32_e32 v18, 0x3fa00000, v16
	v_mul_f32_e32 v18, v16, v18
	v_fma_f32 v18, v16, v18, 1.0
	v_sub_f32_e32 v16, 1.0, v20
	v_fmac_f32_e32 v19, 0x3fa00000, v16
	v_mul_f32_e32 v19, v16, v19
	v_fma_f32 v19, v16, v19, 1.0
	v_sub_f32_e32 v16, 2.0, v20
	v_mov_b32_e32 v20, 0x40700000
	v_fmac_f32_e32 v20, 0xbf400000, v16
	v_fma_f32 v20, v16, v20, v14
	v_fma_f32 v20, v16, v20, v12
	v_mov_b32_e32 v15, 0xc0100000
	v_mov_b32_e32 v13, 0x40700000
	s_waitcnt vmcnt(3)
	v_mul_f32_e32 v16, v21, v17
	v_min_i32_e32 v21, s0, v11
	v_max_i32_e32 v21, 0, v21
	s_waitcnt vmcnt(2)
	v_fmac_f32_e32 v16, v22, v18
	v_mad_i64_i32 v[21:22], s[4:5], v21, s9, 0
	s_waitcnt vmcnt(1)
	v_fmac_f32_e32 v16, v23, v19
	v_add_co_u32_e32 v23, vcc, v2, v21
	s_waitcnt vmcnt(0)
	v_fmac_f32_e32 v16, v24, v20
	v_addc_co_u32_e32 v24, vcc, v3, v22, vcc
	global_load_dword v25, v[23:24], off
	v_add_co_u32_e32 v23, vcc, v4, v21
	v_addc_co_u32_e32 v24, vcc, v5, v22, vcc
	global_load_dword v26, v[23:24], off
	v_add_co_u32_e32 v23, vcc, v6, v21
	v_addc_co_u32_e32 v24, vcc, v7, v22, vcc
	v_add_co_u32_e32 v21, vcc, v8, v21
	global_load_dword v23, v[23:24], off
	v_addc_co_u32_e32 v22, vcc, v9, v22, vcc
	global_load_dword v22, v[21:22], off
	s_waitcnt vmcnt(3)
	v_mul_f32_e32 v21, v25, v17
	s_waitcnt vmcnt(2)
	v_fmac_f32_e32 v21, v26, v18
	s_waitcnt vmcnt(1)
	v_fmac_f32_e32 v21, v23, v19
	;; [unrolled: 2-line block ×3, first 2 shown]
	v_add_u32_e32 v22, 1, v11
	v_min_i32_e32 v22, s0, v22
	v_max_i32_e32 v22, 0, v22
	v_mad_i64_i32 v[22:23], s[4:5], v22, s9, 0
	v_add_u32_e32 v11, 2, v11
	v_min_i32_e32 v11, s0, v11
	v_add_co_u32_e32 v24, vcc, v2, v22
	v_addc_co_u32_e32 v25, vcc, v3, v23, vcc
	global_load_dword v26, v[24:25], off
	v_add_co_u32_e32 v24, vcc, v4, v22
	v_addc_co_u32_e32 v25, vcc, v5, v23, vcc
	global_load_dword v27, v[24:25], off
	v_add_co_u32_e32 v24, vcc, v6, v22
	v_addc_co_u32_e32 v25, vcc, v7, v23, vcc
	v_add_co_u32_e32 v22, vcc, v8, v22
	global_load_dword v24, v[24:25], off
	v_addc_co_u32_e32 v23, vcc, v9, v23, vcc
	global_load_dword v23, v[22:23], off
	v_max_i32_e32 v11, 0, v11
	s_waitcnt vmcnt(3)
	v_mul_f32_e32 v22, v26, v17
	s_waitcnt vmcnt(2)
	v_fmac_f32_e32 v22, v18, v27
	s_waitcnt vmcnt(1)
	v_fmac_f32_e32 v22, v19, v24
	;; [unrolled: 2-line block ×3, first 2 shown]
	v_mad_i64_i32 v[23:24], s[0:1], v11, s9, 0
	v_add_co_u32_e32 v2, vcc, v2, v23
	v_addc_co_u32_e32 v3, vcc, v3, v24, vcc
	global_load_dword v2, v[2:3], off
	v_add_co_u32_e32 v3, vcc, v4, v23
	v_addc_co_u32_e32 v4, vcc, v5, v24, vcc
	global_load_dword v3, v[3:4], off
	;; [unrolled: 3-line block ×4, first 2 shown]
	v_add_co_u32_e32 v0, vcc, s2, v0
	s_waitcnt vmcnt(2)
	v_mul_f32_e32 v3, v18, v3
	v_fmac_f32_e32 v3, v17, v2
	v_add_f32_e32 v2, 1.0, v10
	s_waitcnt vmcnt(1)
	v_fmac_f32_e32 v3, v19, v4
	v_mov_b32_e32 v4, 0x40700000
	v_fmac_f32_e32 v4, 0xbf400000, v2
	v_fma_f32 v4, v2, v4, v14
	v_fma_f32 v2, v2, v4, v12
	s_waitcnt vmcnt(0)
	v_fmac_f32_e32 v3, v20, v5
	v_add_f32_e32 v4, 0, v10
	v_mov_b32_e32 v5, 0xc0100000
	v_fmac_f32_e32 v5, 0x3fa00000, v4
	v_mul_f32_e32 v5, v4, v5
	v_fma_f32 v4, v4, v5, 1.0
	v_sub_f32_e32 v5, 1.0, v10
	v_fmac_f32_e32 v15, 0x3fa00000, v5
	v_mul_f32_e32 v6, v5, v15
	v_fma_f32 v5, v5, v6, 1.0
	v_sub_f32_e32 v6, 2.0, v10
	v_fmac_f32_e32 v13, 0xbf400000, v6
	v_mul_f32_e32 v2, v2, v16
	v_fmac_f32_e32 v14, v6, v13
	v_fmac_f32_e32 v2, v4, v21
	;; [unrolled: 1-line block ×5, first 2 shown]
	v_mov_b32_e32 v3, s3
	v_addc_co_u32_e32 v1, vcc, v3, v1, vcc
	global_store_dword v[0:1], v2, off
.LBB3_2:
	s_endpgm
	.section	.rodata,"a",@progbits
	.p2align	6, 0x0
	.amdhsa_kernel _ZL19upscale_f32_bicubicPKfPfiiiiiiiiiifffff
		.amdhsa_group_segment_fixed_size 0
		.amdhsa_private_segment_fixed_size 0
		.amdhsa_kernarg_size 336
		.amdhsa_user_sgpr_count 6
		.amdhsa_user_sgpr_private_segment_buffer 1
		.amdhsa_user_sgpr_dispatch_ptr 0
		.amdhsa_user_sgpr_queue_ptr 0
		.amdhsa_user_sgpr_kernarg_segment_ptr 1
		.amdhsa_user_sgpr_dispatch_id 0
		.amdhsa_user_sgpr_flat_scratch_init 0
		.amdhsa_user_sgpr_private_segment_size 0
		.amdhsa_uses_dynamic_stack 0
		.amdhsa_system_sgpr_private_segment_wavefront_offset 0
		.amdhsa_system_sgpr_workgroup_id_x 1
		.amdhsa_system_sgpr_workgroup_id_y 0
		.amdhsa_system_sgpr_workgroup_id_z 0
		.amdhsa_system_sgpr_workgroup_info 0
		.amdhsa_system_vgpr_workitem_id 0
		.amdhsa_next_free_vgpr 28
		.amdhsa_next_free_sgpr 24
		.amdhsa_reserve_vcc 1
		.amdhsa_reserve_flat_scratch 0
		.amdhsa_float_round_mode_32 0
		.amdhsa_float_round_mode_16_64 0
		.amdhsa_float_denorm_mode_32 3
		.amdhsa_float_denorm_mode_16_64 3
		.amdhsa_dx10_clamp 1
		.amdhsa_ieee_mode 1
		.amdhsa_fp16_overflow 0
		.amdhsa_exception_fp_ieee_invalid_op 0
		.amdhsa_exception_fp_denorm_src 0
		.amdhsa_exception_fp_ieee_div_zero 0
		.amdhsa_exception_fp_ieee_overflow 0
		.amdhsa_exception_fp_ieee_underflow 0
		.amdhsa_exception_fp_ieee_inexact 0
		.amdhsa_exception_int_div_zero 0
	.end_amdhsa_kernel
	.section	.text._ZL19upscale_f32_bicubicPKfPfiiiiiiiiiifffff,"axG",@progbits,_ZL19upscale_f32_bicubicPKfPfiiiiiiiiiifffff,comdat
.Lfunc_end3:
	.size	_ZL19upscale_f32_bicubicPKfPfiiiiiiiiiifffff, .Lfunc_end3-_ZL19upscale_f32_bicubicPKfPfiiiiiiiiiifffff
                                        ; -- End function
	.set _ZL19upscale_f32_bicubicPKfPfiiiiiiiiiifffff.num_vgpr, 28
	.set _ZL19upscale_f32_bicubicPKfPfiiiiiiiiiifffff.num_agpr, 0
	.set _ZL19upscale_f32_bicubicPKfPfiiiiiiiiiifffff.numbered_sgpr, 24
	.set _ZL19upscale_f32_bicubicPKfPfiiiiiiiiiifffff.num_named_barrier, 0
	.set _ZL19upscale_f32_bicubicPKfPfiiiiiiiiiifffff.private_seg_size, 0
	.set _ZL19upscale_f32_bicubicPKfPfiiiiiiiiiifffff.uses_vcc, 1
	.set _ZL19upscale_f32_bicubicPKfPfiiiiiiiiiifffff.uses_flat_scratch, 0
	.set _ZL19upscale_f32_bicubicPKfPfiiiiiiiiiifffff.has_dyn_sized_stack, 0
	.set _ZL19upscale_f32_bicubicPKfPfiiiiiiiiiifffff.has_recursion, 0
	.set _ZL19upscale_f32_bicubicPKfPfiiiiiiiiiifffff.has_indirect_call, 0
	.section	.AMDGPU.csdata,"",@progbits
; Kernel info:
; codeLenInByte = 1944
; TotalNumSgprs: 28
; NumVgprs: 28
; ScratchSize: 0
; MemoryBound: 0
; FloatMode: 240
; IeeeMode: 1
; LDSByteSize: 0 bytes/workgroup (compile time only)
; SGPRBlocks: 3
; VGPRBlocks: 6
; NumSGPRsForWavesPerEU: 28
; NumVGPRsForWavesPerEU: 28
; Occupancy: 9
; WaveLimiterHint : 0
; COMPUTE_PGM_RSRC2:SCRATCH_EN: 0
; COMPUTE_PGM_RSRC2:USER_SGPR: 6
; COMPUTE_PGM_RSRC2:TRAP_HANDLER: 0
; COMPUTE_PGM_RSRC2:TGID_X_EN: 1
; COMPUTE_PGM_RSRC2:TGID_Y_EN: 0
; COMPUTE_PGM_RSRC2:TGID_Z_EN: 0
; COMPUTE_PGM_RSRC2:TIDIG_COMP_CNT: 0
	.section	.AMDGPU.gpr_maximums,"",@progbits
	.set amdgpu.max_num_vgpr, 0
	.set amdgpu.max_num_agpr, 0
	.set amdgpu.max_num_sgpr, 0
	.section	.AMDGPU.csdata,"",@progbits
	.type	__hip_cuid_ac70a122e195356f,@object ; @__hip_cuid_ac70a122e195356f
	.section	.bss,"aw",@nobits
	.globl	__hip_cuid_ac70a122e195356f
__hip_cuid_ac70a122e195356f:
	.byte	0                               ; 0x0
	.size	__hip_cuid_ac70a122e195356f, 1

	.ident	"AMD clang version 22.0.0git (https://github.com/RadeonOpenCompute/llvm-project roc-7.2.4 26084 f58b06dce1f9c15707c5f808fd002e18c2accf7e)"
	.section	".note.GNU-stack","",@progbits
	.addrsig
	.addrsig_sym __hip_cuid_ac70a122e195356f
	.amdgpu_metadata
---
amdhsa.kernels:
  - .args:
      - .address_space:  global
        .offset:         0
        .size:           8
        .value_kind:     global_buffer
      - .address_space:  global
        .offset:         8
        .size:           8
        .value_kind:     global_buffer
      - .offset:         16
        .size:           4
        .value_kind:     by_value
      - .offset:         20
        .size:           4
        .value_kind:     by_value
      - .offset:         24
        .size:           4
        .value_kind:     by_value
      - .offset:         28
        .size:           4
        .value_kind:     by_value
      - .offset:         32
        .size:           4
        .value_kind:     by_value
      - .offset:         36
        .size:           4
        .value_kind:     by_value
      - .offset:         40
        .size:           4
        .value_kind:     by_value
      - .offset:         44
        .size:           4
        .value_kind:     by_value
      - .offset:         48
        .size:           4
        .value_kind:     by_value
      - .offset:         52
        .size:           4
        .value_kind:     by_value
      - .offset:         56
        .size:           4
        .value_kind:     by_value
      - .offset:         60
        .size:           4
        .value_kind:     by_value
      - .offset:         64
        .size:           4
        .value_kind:     hidden_block_count_x
      - .offset:         68
        .size:           4
        .value_kind:     hidden_block_count_y
      - .offset:         72
        .size:           4
        .value_kind:     hidden_block_count_z
      - .offset:         76
        .size:           2
        .value_kind:     hidden_group_size_x
      - .offset:         78
        .size:           2
        .value_kind:     hidden_group_size_y
      - .offset:         80
        .size:           2
        .value_kind:     hidden_group_size_z
      - .offset:         82
        .size:           2
        .value_kind:     hidden_remainder_x
      - .offset:         84
        .size:           2
        .value_kind:     hidden_remainder_y
      - .offset:         86
        .size:           2
        .value_kind:     hidden_remainder_z
      - .offset:         104
        .size:           8
        .value_kind:     hidden_global_offset_x
      - .offset:         112
        .size:           8
        .value_kind:     hidden_global_offset_y
      - .offset:         120
        .size:           8
        .value_kind:     hidden_global_offset_z
      - .offset:         128
        .size:           2
        .value_kind:     hidden_grid_dims
    .group_segment_fixed_size: 0
    .kernarg_segment_align: 8
    .kernarg_segment_size: 320
    .language:       OpenCL C
    .language_version:
      - 2
      - 0
    .max_flat_workgroup_size: 1024
    .name:           _ZL11upscale_f32PKfPfiiiiiiiiffff
    .private_segment_fixed_size: 0
    .sgpr_count:     28
    .sgpr_spill_count: 0
    .symbol:         _ZL11upscale_f32PKfPfiiiiiiiiffff.kd
    .uniform_work_group_size: 1
    .uses_dynamic_stack: false
    .vgpr_count:     16
    .vgpr_spill_count: 0
    .wavefront_size: 64
  - .args:
      - .address_space:  global
        .offset:         0
        .size:           8
        .value_kind:     global_buffer
      - .address_space:  global
        .offset:         8
        .size:           8
        .value_kind:     global_buffer
      - .offset:         16
        .size:           4
        .value_kind:     by_value
      - .offset:         20
        .size:           4
        .value_kind:     by_value
      - .offset:         24
        .size:           4
        .value_kind:     by_value
      - .offset:         28
        .size:           4
        .value_kind:     by_value
      - .offset:         32
        .size:           4
        .value_kind:     by_value
      - .offset:         36
        .size:           4
        .value_kind:     by_value
      - .offset:         40
        .size:           4
        .value_kind:     by_value
      - .offset:         44
        .size:           4
        .value_kind:     by_value
      - .offset:         48
        .size:           4
        .value_kind:     by_value
      - .offset:         52
        .size:           4
        .value_kind:     by_value
      - .offset:         56
        .size:           4
        .value_kind:     by_value
      - .offset:         60
        .size:           4
        .value_kind:     by_value
      - .offset:         64
        .size:           4
        .value_kind:     by_value
      - .offset:         68
        .size:           4
        .value_kind:     by_value
      - .offset:         72
        .size:           4
        .value_kind:     by_value
      - .offset:         80
        .size:           4
        .value_kind:     hidden_block_count_x
      - .offset:         84
        .size:           4
        .value_kind:     hidden_block_count_y
      - .offset:         88
        .size:           4
        .value_kind:     hidden_block_count_z
      - .offset:         92
        .size:           2
        .value_kind:     hidden_group_size_x
      - .offset:         94
        .size:           2
        .value_kind:     hidden_group_size_y
      - .offset:         96
        .size:           2
        .value_kind:     hidden_group_size_z
      - .offset:         98
        .size:           2
        .value_kind:     hidden_remainder_x
      - .offset:         100
        .size:           2
        .value_kind:     hidden_remainder_y
      - .offset:         102
        .size:           2
        .value_kind:     hidden_remainder_z
      - .offset:         120
        .size:           8
        .value_kind:     hidden_global_offset_x
      - .offset:         128
        .size:           8
        .value_kind:     hidden_global_offset_y
      - .offset:         136
        .size:           8
        .value_kind:     hidden_global_offset_z
      - .offset:         144
        .size:           2
        .value_kind:     hidden_grid_dims
    .group_segment_fixed_size: 0
    .kernarg_segment_align: 8
    .kernarg_segment_size: 336
    .language:       OpenCL C
    .language_version:
      - 2
      - 0
    .max_flat_workgroup_size: 1024
    .name:           _ZL20upscale_f32_bilinearPKfPfiiiiiiiiiifffff
    .private_segment_fixed_size: 0
    .sgpr_count:     32
    .sgpr_spill_count: 0
    .symbol:         _ZL20upscale_f32_bilinearPKfPfiiiiiiiiiifffff.kd
    .uniform_work_group_size: 1
    .uses_dynamic_stack: false
    .vgpr_count:     19
    .vgpr_spill_count: 0
    .wavefront_size: 64
  - .args:
      - .address_space:  global
        .offset:         0
        .size:           8
        .value_kind:     global_buffer
      - .address_space:  global
        .offset:         8
        .size:           8
        .value_kind:     global_buffer
      - .offset:         16
        .size:           4
        .value_kind:     by_value
      - .offset:         20
        .size:           4
        .value_kind:     by_value
      - .offset:         24
        .size:           4
        .value_kind:     by_value
      - .offset:         28
        .size:           4
        .value_kind:     by_value
      - .offset:         32
        .size:           4
        .value_kind:     by_value
      - .offset:         36
        .size:           4
        .value_kind:     by_value
      - .offset:         40
        .size:           4
        .value_kind:     by_value
      - .offset:         44
        .size:           4
        .value_kind:     by_value
      - .offset:         48
        .size:           4
        .value_kind:     by_value
      - .offset:         52
        .size:           4
        .value_kind:     by_value
      - .offset:         56
        .size:           4
        .value_kind:     by_value
      - .offset:         60
        .size:           4
        .value_kind:     by_value
      - .offset:         64
        .size:           4
        .value_kind:     by_value
      - .offset:         68
        .size:           4
        .value_kind:     by_value
      - .offset:         72
        .size:           4
        .value_kind:     by_value
      - .offset:         80
        .size:           4
        .value_kind:     hidden_block_count_x
      - .offset:         84
        .size:           4
        .value_kind:     hidden_block_count_y
      - .offset:         88
        .size:           4
        .value_kind:     hidden_block_count_z
      - .offset:         92
        .size:           2
        .value_kind:     hidden_group_size_x
      - .offset:         94
        .size:           2
        .value_kind:     hidden_group_size_y
      - .offset:         96
        .size:           2
        .value_kind:     hidden_group_size_z
      - .offset:         98
        .size:           2
        .value_kind:     hidden_remainder_x
      - .offset:         100
        .size:           2
        .value_kind:     hidden_remainder_y
      - .offset:         102
        .size:           2
        .value_kind:     hidden_remainder_z
      - .offset:         120
        .size:           8
        .value_kind:     hidden_global_offset_x
      - .offset:         128
        .size:           8
        .value_kind:     hidden_global_offset_y
      - .offset:         136
        .size:           8
        .value_kind:     hidden_global_offset_z
      - .offset:         144
        .size:           2
        .value_kind:     hidden_grid_dims
    .group_segment_fixed_size: 0
    .kernarg_segment_align: 8
    .kernarg_segment_size: 336
    .language:       OpenCL C
    .language_version:
      - 2
      - 0
    .max_flat_workgroup_size: 1024
    .name:           _ZL30upscale_f32_bilinear_antialiasPKfPfiiiiiiiiiifffff
    .private_segment_fixed_size: 0
    .sgpr_count:     36
    .sgpr_spill_count: 0
    .symbol:         _ZL30upscale_f32_bilinear_antialiasPKfPfiiiiiiiiiifffff.kd
    .uniform_work_group_size: 1
    .uses_dynamic_stack: false
    .vgpr_count:     26
    .vgpr_spill_count: 0
    .wavefront_size: 64
  - .args:
      - .address_space:  global
        .offset:         0
        .size:           8
        .value_kind:     global_buffer
      - .address_space:  global
        .offset:         8
        .size:           8
        .value_kind:     global_buffer
      - .offset:         16
        .size:           4
        .value_kind:     by_value
      - .offset:         20
        .size:           4
        .value_kind:     by_value
      - .offset:         24
        .size:           4
        .value_kind:     by_value
      - .offset:         28
        .size:           4
        .value_kind:     by_value
      - .offset:         32
        .size:           4
        .value_kind:     by_value
      - .offset:         36
        .size:           4
        .value_kind:     by_value
      - .offset:         40
        .size:           4
        .value_kind:     by_value
      - .offset:         44
        .size:           4
        .value_kind:     by_value
      - .offset:         48
        .size:           4
        .value_kind:     by_value
      - .offset:         52
        .size:           4
        .value_kind:     by_value
      - .offset:         56
        .size:           4
        .value_kind:     by_value
      - .offset:         60
        .size:           4
        .value_kind:     by_value
      - .offset:         64
        .size:           4
        .value_kind:     by_value
      - .offset:         68
        .size:           4
        .value_kind:     by_value
      - .offset:         72
        .size:           4
        .value_kind:     by_value
      - .offset:         80
        .size:           4
        .value_kind:     hidden_block_count_x
      - .offset:         84
        .size:           4
        .value_kind:     hidden_block_count_y
      - .offset:         88
        .size:           4
        .value_kind:     hidden_block_count_z
      - .offset:         92
        .size:           2
        .value_kind:     hidden_group_size_x
      - .offset:         94
        .size:           2
        .value_kind:     hidden_group_size_y
      - .offset:         96
        .size:           2
        .value_kind:     hidden_group_size_z
      - .offset:         98
        .size:           2
        .value_kind:     hidden_remainder_x
      - .offset:         100
        .size:           2
        .value_kind:     hidden_remainder_y
      - .offset:         102
        .size:           2
        .value_kind:     hidden_remainder_z
      - .offset:         120
        .size:           8
        .value_kind:     hidden_global_offset_x
      - .offset:         128
        .size:           8
        .value_kind:     hidden_global_offset_y
      - .offset:         136
        .size:           8
        .value_kind:     hidden_global_offset_z
      - .offset:         144
        .size:           2
        .value_kind:     hidden_grid_dims
    .group_segment_fixed_size: 0
    .kernarg_segment_align: 8
    .kernarg_segment_size: 336
    .language:       OpenCL C
    .language_version:
      - 2
      - 0
    .max_flat_workgroup_size: 1024
    .name:           _ZL19upscale_f32_bicubicPKfPfiiiiiiiiiifffff
    .private_segment_fixed_size: 0
    .sgpr_count:     28
    .sgpr_spill_count: 0
    .symbol:         _ZL19upscale_f32_bicubicPKfPfiiiiiiiiiifffff.kd
    .uniform_work_group_size: 1
    .uses_dynamic_stack: false
    .vgpr_count:     28
    .vgpr_spill_count: 0
    .wavefront_size: 64
amdhsa.target:   amdgcn-amd-amdhsa--gfx906
amdhsa.version:
  - 1
  - 2
...

	.end_amdgpu_metadata
